;; amdgpu-corpus repo=ROCm/rocFFT kind=compiled arch=gfx90a opt=O3
	.text
	.amdgcn_target "amdgcn-amd-amdhsa--gfx90a"
	.amdhsa_code_object_version 6
	.protected	bluestein_single_fwd_len2401_dim1_sp_op_CI_CI ; -- Begin function bluestein_single_fwd_len2401_dim1_sp_op_CI_CI
	.globl	bluestein_single_fwd_len2401_dim1_sp_op_CI_CI
	.p2align	8
	.type	bluestein_single_fwd_len2401_dim1_sp_op_CI_CI,@function
bluestein_single_fwd_len2401_dim1_sp_op_CI_CI: ; @bluestein_single_fwd_len2401_dim1_sp_op_CI_CI
; %bb.0:
	s_load_dwordx4 s[16:19], s[4:5], 0x28
	s_mov_b64 s[26:27], s[2:3]
	s_mov_b64 s[24:25], s[0:1]
	v_mul_u32_u24_e32 v1, 0x53a, v0
	s_add_u32 s24, s24, s7
	v_add_u32_sdwa v4, s6, v1 dst_sel:DWORD dst_unused:UNUSED_PAD src0_sel:DWORD src1_sel:WORD_1
	v_mov_b32_e32 v5, 0
	s_addc_u32 s25, s25, 0
	s_waitcnt lgkmcnt(0)
	v_cmp_gt_u64_e32 vcc, s[16:17], v[4:5]
	s_and_saveexec_b64 s[0:1], vcc
	s_cbranch_execz .LBB0_2
; %bb.1:
	s_load_dwordx4 s[0:3], s[4:5], 0x18
	s_load_dwordx4 s[8:11], s[4:5], 0x0
	v_mov_b32_e32 v2, 49
	v_mul_lo_u16_sdwa v1, v1, v2 dst_sel:DWORD dst_unused:UNUSED_PAD src0_sel:WORD_1 src1_sel:DWORD
	v_sub_u16_e32 v112, v0, v1
	s_waitcnt lgkmcnt(0)
	s_load_dwordx4 s[12:15], s[0:1], 0x0
	v_mov_b32_e32 v6, v4
	v_lshlrev_b32_e32 v193, 3, v112
	v_mov_b32_e32 v192, 0xab8
	global_load_dwordx2 v[26:27], v193, s[8:9]
	s_waitcnt lgkmcnt(0)
	v_mad_u64_u32 v[0:1], s[0:1], s14, v4, 0
	v_mov_b32_e32 v4, v1
	v_mad_u64_u32 v[2:3], s[0:1], s12, v112, 0
	v_mad_u64_u32 v[4:5], s[0:1], s15, v6, v[4:5]
	v_mov_b32_e32 v1, v4
	v_mov_b32_e32 v4, v3
	v_mad_u64_u32 v[4:5], s[0:1], s13, v112, v[4:5]
	v_lshlrev_b64 v[0:1], 3, v[0:1]
	v_mov_b32_e32 v3, v4
	v_mov_b32_e32 v4, s19
	v_add_co_u32_e32 v5, vcc, s18, v0
	v_addc_co_u32_e32 v4, vcc, v4, v1, vcc
	v_lshlrev_b64 v[0:1], 3, v[2:3]
	v_add_co_u32_e32 v0, vcc, v5, v0
	v_addc_co_u32_e32 v1, vcc, v4, v1, vcc
	global_load_dwordx2 v[8:9], v[0:1], off
	v_mad_u64_u32 v[0:1], s[0:1], s12, v192, v[0:1]
	s_mul_i32 s6, s13, 0xab8
	v_add_u32_e32 v1, s6, v1
	global_load_dwordx2 v[24:25], v193, s[8:9] offset:2744
	global_load_dwordx2 v[4:5], v[0:1], off
	v_mov_b32_e32 v2, s9
	v_add_co_u32_e32 v3, vcc, s8, v193
	v_accvgpr_write_b32 a4, v6
	s_movk_i32 s16, 0x1000
	v_addc_co_u32_e32 v6, vcc, 0, v2, vcc
	v_add_co_u32_e32 v2, vcc, s16, v3
	v_mad_u64_u32 v[10:11], s[0:1], s12, v192, v[0:1]
	v_mov_b32_e32 v16, v3
	v_addc_co_u32_e32 v3, vcc, 0, v6, vcc
	v_add_u32_e32 v11, s6, v11
	v_mov_b32_e32 v17, v6
	global_load_dwordx2 v[32:33], v[2:3], off offset:1392
	global_load_dwordx2 v[6:7], v[10:11], off
	s_movk_i32 s15, 0x2000
	v_add_co_u32_e32 v0, vcc, s15, v16
	v_addc_co_u32_e32 v1, vcc, 0, v17, vcc
	global_load_dwordx2 v[38:39], v[0:1], off offset:40
	v_mad_u64_u32 v[12:13], s[18:19], s12, v192, v[10:11]
	v_add_u32_e32 v13, s6, v13
	s_load_dwordx4 s[0:3], s[2:3], 0x0
	global_load_dwordx2 v[10:11], v[12:13], off
	global_load_dwordx2 v[36:37], v193, s[8:9] offset:392
	global_load_dwordx2 v[34:35], v193, s[8:9] offset:784
	;; [unrolled: 1-line block ×6, first 2 shown]
	global_load_dwordx2 v[52:53], v[0:1], off offset:2784
	v_mad_u64_u32 v[12:13], s[18:19], s12, v192, v[12:13]
	s_movk_i32 s14, 0x3000
	v_add_u32_e32 v13, s6, v13
	v_mov_b32_e32 v28, v16
	global_load_dwordx2 v[14:15], v[12:13], off
	v_add_co_u32_e32 v16, vcc, s14, v28
	v_mov_b32_e32 v29, v17
	v_mad_u64_u32 v[12:13], s[18:19], s12, v192, v[12:13]
	s_movk_i32 s7, 0x4000
	v_addc_co_u32_e32 v17, vcc, 0, v29, vcc
	v_add_u32_e32 v13, s6, v13
	global_load_dwordx2 v[54:55], v[16:17], off offset:1432
	global_load_dwordx2 v[18:19], v[12:13], off
	v_mad_u64_u32 v[12:13], s[18:19], s12, v192, v[12:13]
	v_add_co_u32_e32 v98, vcc, s7, v28
	v_add_u32_e32 v13, s6, v13
	v_addc_co_u32_e32 v99, vcc, 0, v29, vcc
	global_load_dwordx2 v[72:73], v[98:99], off offset:80
	global_load_dwordx2 v[20:21], v[12:13], off
	s_mul_i32 s7, s13, 0xffffc138
	s_sub_i32 s7, s7, s12
	s_waitcnt vmcnt(19)
	v_accvgpr_write_b32 a87, v27
	v_accvgpr_write_b32 a86, v26
	;; [unrolled: 1-line block ×4, first 2 shown]
	v_mov_b32_e32 v40, 0xffffc138
	v_add_u32_e32 v41, 0x1400, v193
	v_accvgpr_write_b32 a157, v41
	v_add_u32_e32 v116, 0x2000, v193
	v_add_u32_e32 v114, 0x4000, v193
	;; [unrolled: 1-line block ×3, first 2 shown]
	v_accvgpr_write_b32 a249, v99
	v_accvgpr_write_b32 a248, v98
	v_add_co_u32_e32 v113, vcc, 49, v112
	s_movk_i32 s13, 0x62
	v_add_co_u32_e32 v103, vcc, s13, v112
	s_waitcnt vmcnt(18)
	v_mul_f32_e32 v22, v9, v27
	v_mul_f32_e32 v23, v8, v27
	v_fmac_f32_e32 v22, v8, v26
	v_fma_f32 v23, v9, v26, -v23
	s_waitcnt vmcnt(17)
	v_accvgpr_write_b32 a81, v25
	s_waitcnt vmcnt(16)
	v_mul_f32_e32 v8, v5, v25
	v_mul_f32_e32 v9, v4, v25
	v_fmac_f32_e32 v8, v4, v24
	v_mov_b32_e32 v4, 0xffffc138
	v_fma_f32 v9, v5, v24, -v9
	v_mad_u64_u32 v[4:5], s[18:19], s12, v4, v[12:13]
	v_add_u32_e32 v5, s7, v5
	ds_write_b64 v193, v[8:9] offset:2744
	global_load_dwordx2 v[8:9], v[4:5], off
	v_mad_u64_u32 v[4:5], s[18:19], s12, v192, v[4:5]
	v_add_u32_e32 v5, s6, v5
	global_load_dwordx2 v[12:13], v[4:5], off
	global_load_dwordx2 v[88:89], v193, s[8:9] offset:3136
	v_mad_u64_u32 v[4:5], s[18:19], s12, v192, v[4:5]
	v_add_u32_e32 v5, s6, v5
	v_accvgpr_write_b32 a80, v24
	global_load_dwordx2 v[24:25], v[4:5], off
	global_load_dwordx2 v[82:83], v[2:3], off offset:1784
	v_mad_u64_u32 v[4:5], s[18:19], s12, v192, v[4:5]
	v_add_u32_e32 v5, s6, v5
	global_load_dwordx2 v[26:27], v[4:5], off
	global_load_dwordx2 v[70:71], v[0:1], off offset:432
	v_mad_u64_u32 v[4:5], s[18:19], s12, v192, v[4:5]
	s_waitcnt vmcnt(21)
	v_mul_f32_e32 v30, v7, v33
	v_add_u32_e32 v5, s6, v5
	v_fmac_f32_e32 v30, v6, v32
	v_mul_f32_e32 v6, v6, v33
	global_load_dwordx2 v[28:29], v[4:5], off
	global_load_dwordx2 v[68:69], v[0:1], off offset:3176
	global_load_dwordx2 v[58:59], v[2:3], off offset:608
	;; [unrolled: 1-line block ×3, first 2 shown]
	v_fma_f32 v31, v7, v32, -v6
	v_mad_u64_u32 v[4:5], s[18:19], s12, v192, v[4:5]
	ds_write_b64 v193, v[30:31] offset:5488
	v_add_u32_e32 v5, s6, v5
	global_load_dwordx2 v[6:7], v[4:5], off
	global_load_dwordx2 v[80:81], v[16:17], off offset:1824
	global_load_dwordx2 v[78:79], v[0:1], off offset:824
	global_load_dwordx2 v[48:49], v[2:3], off offset:3744
	s_waitcnt vmcnt(27)
	v_mul_f32_e32 v30, v11, v39
	v_mad_u64_u32 v[4:5], s[18:19], s12, v192, v[4:5]
	v_accvgpr_write_b32 a93, v33
	v_fmac_f32_e32 v30, v10, v38
	v_add_u32_e32 v5, s6, v5
	v_mul_f32_e32 v10, v10, v39
	v_accvgpr_write_b32 a92, v32
	global_load_dwordx2 v[32:33], v[4:5], off
	global_load_dwordx2 v[84:85], v[98:99], off offset:472
	v_fma_f32 v31, v11, v38, -v10
	v_mad_u64_u32 v[4:5], s[18:19], s12, v40, v[4:5]
	ds_write_b64 v193, v[30:31] offset:8232
	v_add_u32_e32 v5, s7, v5
	global_load_dwordx2 v[64:65], v[0:1], off offset:3568
	global_load_dwordx2 v[76:77], v[0:1], off offset:3960
	global_load_dwordx2 v[30:31], v[4:5], off
	s_waitcnt vmcnt(24)
	v_mul_f32_e32 v10, v15, v53
	v_mul_f32_e32 v11, v14, v53
	v_fmac_f32_e32 v10, v14, v52
	v_fma_f32 v11, v15, v52, -v11
	v_mad_u64_u32 v[4:5], s[18:19], s12, v192, v[4:5]
	s_waitcnt vmcnt(22)
	v_mul_f32_e32 v14, v19, v55
	v_mul_f32_e32 v15, v18, v55
	v_accvgpr_write_b32 a97, v39
	v_accvgpr_write_b32 a89, v53
	ds_write_b64 v193, v[10:11] offset:10976
	v_add_u32_e32 v5, s6, v5
	v_fmac_f32_e32 v14, v18, v54
	v_fma_f32 v15, v19, v54, -v15
	v_accvgpr_write_b32 a96, v38
	v_accvgpr_write_b32 a88, v52
	global_load_dwordx2 v[10:11], v[4:5], off
	global_load_dwordx2 v[38:39], v193, s[8:9] offset:3528
	global_load_dwordx2 v[66:67], v[16:17], off offset:256
	global_load_dwordx2 v[60:61], v[16:17], off offset:648
	;; [unrolled: 1-line block ×3, first 2 shown]
	ds_write_b64 v193, v[14:15] offset:13720
	s_waitcnt vmcnt(25)
	v_mul_f32_e32 v14, v21, v73
	v_mul_f32_e32 v15, v20, v73
	v_accvgpr_write_b32 a99, v55
	v_fmac_f32_e32 v14, v20, v72
	v_fma_f32 v15, v21, v72, -v15
	v_mad_u64_u32 v[4:5], s[18:19], s12, v192, v[4:5]
	v_accvgpr_write_b32 a98, v54
	global_load_dwordx2 v[62:63], v[16:17], off offset:3392
	global_load_dwordx2 v[54:55], v[16:17], off offset:3784
	ds_write_b64 v193, v[14:15] offset:16464
	v_add_u32_e32 v5, s6, v5
	global_load_dwordx2 v[14:15], v[4:5], off
	global_load_dwordx2 v[86:87], v[2:3], off offset:2176
	v_accvgpr_write_b32 a95, v73
	v_accvgpr_write_b32 a94, v72
	;; [unrolled: 1-line block ×7, first 2 shown]
	s_waitcnt vmcnt(28)
	v_mul_f32_e32 v18, v9, v37
	v_fmac_f32_e32 v18, v8, v36
	v_mul_f32_e32 v8, v8, v37
	v_fma_f32 v19, v9, v36, -v8
	ds_write2_b64 v193, v[22:23], v[18:19] offset1:49
	global_load_dwordx2 v[72:73], v193, s[8:9] offset:3920
	global_load_dwordx2 v[74:75], v[2:3], off offset:216
	v_mad_u64_u32 v[4:5], s[8:9], s12, v192, v[4:5]
	v_add_u32_e32 v5, s6, v5
	global_load_dwordx2 v[22:23], v[4:5], off
	s_waitcnt vmcnt(29)
	v_mul_f32_e32 v8, v13, v89
	v_mul_f32_e32 v9, v12, v89
	v_fmac_f32_e32 v8, v12, v88
	v_fma_f32 v9, v13, v88, -v9
	s_waitcnt vmcnt(27)
	v_mul_f32_e32 v12, v25, v83
	v_mul_f32_e32 v13, v24, v83
	v_accvgpr_write_b32 a82, v82
	s_waitcnt vmcnt(25)
	v_mul_f32_e32 v18, v27, v71
	v_mul_f32_e32 v19, v26, v71
	v_accvgpr_write_b32 a79, v71
	v_fmac_f32_e32 v12, v24, v82
	v_fma_f32 v13, v25, v82, -v13
	v_accvgpr_write_b32 a83, v83
	v_fmac_f32_e32 v18, v26, v70
	v_fma_f32 v19, v27, v70, -v19
	v_accvgpr_write_b32 a78, v70
	global_load_dwordx2 v[90:91], v[16:17], off offset:2216
	global_load_dwordx2 v[82:83], v[16:17], off offset:2608
	;; [unrolled: 1-line block ×3, first 2 shown]
	s_waitcnt vmcnt(22)
	v_mul_f32_e32 v16, v7, v81
	v_mad_u64_u32 v[4:5], s[8:9], s12, v192, v[4:5]
	v_fmac_f32_e32 v16, v6, v80
	v_mul_f32_e32 v6, v6, v81
	v_add_u32_e32 v5, s6, v5
	v_fma_f32 v17, v7, v80, -v6
	global_load_dwordx2 v[6:7], v[4:5], off
	v_mad_u64_u32 v[4:5], s[8:9], s12, v192, v[4:5]
	v_add_u32_e32 v5, s6, v5
	global_load_dwordx2 v[26:27], v[4:5], off
	v_mad_u64_u32 v[4:5], s[8:9], s12, v192, v[4:5]
	s_waitcnt vmcnt(20)
	v_mul_f32_e32 v24, v33, v85
	v_mul_f32_e32 v25, v32, v85
	v_add_u32_e32 v5, s6, v5
	v_mul_f32_e32 v20, v29, v69
	v_mul_f32_e32 v21, v28, v69
	v_fmac_f32_e32 v24, v32, v84
	v_fma_f32 v25, v33, v84, -v25
	global_load_dwordx2 v[32:33], v[4:5], off
	global_load_dwordx2 v[92:93], v[98:99], off offset:864
	v_mad_u64_u32 v[4:5], s[8:9], s12, v40, v[4:5]
	v_fmac_f32_e32 v20, v28, v68
	v_fma_f32 v21, v29, v68, -v21
	s_waitcnt vmcnt(19)
	v_mul_f32_e32 v28, v31, v35
	v_mul_f32_e32 v29, v30, v35
	v_add_u32_e32 v5, s7, v5
	v_fmac_f32_e32 v28, v30, v34
	v_fma_f32 v29, v31, v34, -v29
	global_load_dwordx2 v[34:35], v[4:5], off
	v_mad_u64_u32 v[4:5], s[8:9], s12, v192, v[4:5]
	v_add_u32_e32 v5, s6, v5
	global_load_dwordx2 v[36:37], v[4:5], off
	v_accvgpr_write_b32 a77, v69
	s_waitcnt vmcnt(19)
	v_mul_f32_e32 v30, v11, v39
	v_mad_u64_u32 v[4:5], s[8:9], s12, v192, v[4:5]
	v_accvgpr_write_b32 a84, v88
	v_accvgpr_write_b32 a76, v68
	v_fmac_f32_e32 v30, v10, v38
	v_mul_f32_e32 v10, v10, v39
	v_pk_mov_b32 v[68:69], v[38:39], v[38:39] op_sel:[0,1]
	v_add_u32_e32 v5, s6, v5
	v_accvgpr_write_b32 a85, v89
	global_load_dwordx2 v[38:39], v[4:5], off
	global_load_dwordx2 v[88:89], v[2:3], off offset:2568
	v_fma_f32 v31, v11, v68, -v10
	v_add_u32_e32 v10, 0x800, v193
	v_mad_u64_u32 v[4:5], s[8:9], s12, v192, v[4:5]
	v_accvgpr_write_b32 a74, v80
	v_accvgpr_write_b32 a68, v68
	ds_write2_b64 v10, v[8:9], v[30:31] offset0:136 offset1:185
	v_add_u32_e32 v5, s6, v5
	v_accvgpr_write_b32 a75, v81
	v_accvgpr_write_b32 a69, v69
	global_load_dwordx2 v[80:81], v[2:3], off offset:2960
	global_load_dwordx2 v[68:69], v[2:3], off offset:3352
	s_waitcnt vmcnt(16)
	v_pk_mov_b32 v[30:31], v[86:87], v[86:87] op_sel:[0,1]
	global_load_dwordx2 v[8:9], v[4:5], off
	global_load_dwordx2 v[86:87], v[0:1], off offset:1216
	v_mad_u64_u32 v[4:5], s[8:9], s12, v192, v[4:5]
	v_add_u32_e32 v5, s6, v5
	v_mov_b32_e32 v94, v10
	global_load_dwordx2 v[10:11], v[4:5], off
	v_mad_u64_u32 v[4:5], s[8:9], s12, v192, v[4:5]
	v_mul_f32_e32 v2, v15, v31
	v_mul_f32_e32 v3, v14, v31
	v_add_u32_e32 v5, s6, v5
	v_fmac_f32_e32 v2, v14, v30
	v_fma_f32 v3, v15, v30, -v3
	global_load_dwordx2 v[14:15], v[4:5], off
	v_mad_u64_u32 v[4:5], s[8:9], s12, v192, v[4:5]
	v_accvgpr_write_b32 a72, v84
	v_accvgpr_write_b32 a67, v31
	v_add_u32_e32 v5, s6, v5
	v_accvgpr_write_b32 a73, v85
	v_accvgpr_write_b32 a66, v30
	global_load_dwordx2 v[30:31], v[4:5], off
	global_load_dwordx2 v[84:85], v[98:99], off offset:1256
	v_mad_u64_u32 v[4:5], s[8:9], s12, v40, v[4:5]
	v_add_u32_e32 v5, s7, v5
	ds_write2_b64 v41, v[12:13], v[2:3] offset0:95 offset1:144
	global_load_dwordx2 v[12:13], v[4:5], off
	v_mad_u64_u32 v[4:5], s[8:9], s12, v192, v[4:5]
	v_add_u32_e32 v5, s6, v5
	s_waitcnt vmcnt(20)
	v_mul_f32_e32 v2, v23, v79
	global_load_dwordx2 v[40:41], v[4:5], off
	v_mul_f32_e32 v3, v22, v79
	v_mad_u64_u32 v[4:5], s[8:9], s12, v192, v[4:5]
	v_fmac_f32_e32 v2, v22, v78
	v_fma_f32 v3, v23, v78, -v3
	v_add_u32_e32 v5, s6, v5
	ds_write2_b64 v116, v[18:19], v[2:3] offset0:54 offset1:103
	global_load_dwordx2 v[18:19], v[4:5], off
	s_waitcnt vmcnt(18)
	v_mul_f32_e32 v2, v7, v65
	v_mul_f32_e32 v3, v6, v65
	v_fmac_f32_e32 v2, v6, v64
	v_fma_f32 v3, v7, v64, -v3
	v_add_u32_e32 v6, 0x2800, v193
	ds_write2_b64 v6, v[20:21], v[2:3] offset0:141 offset1:190
	s_waitcnt vmcnt(17)
	v_mul_f32_e32 v2, v27, v91
	v_mul_f32_e32 v3, v26, v91
	v_mov_b32_e32 v97, v6
	v_fmac_f32_e32 v2, v26, v90
	v_fma_f32 v3, v27, v90, -v3
	v_add_u32_e32 v6, 0x3400, v193
	ds_write2_b64 v6, v[16:17], v[2:3] offset0:100 offset1:149
	s_waitcnt vmcnt(15)
	v_mul_f32_e32 v2, v33, v93
	v_mul_f32_e32 v3, v32, v93
	v_accvgpr_write_b32 a32, v78
	v_accvgpr_write_b32 a64, v64
	v_fmac_f32_e32 v2, v32, v92
	v_fma_f32 v3, v33, v92, -v3
	v_accvgpr_write_b32 a33, v79
	v_accvgpr_write_b32 a65, v65
	global_load_dwordx2 v[78:79], v[98:99], off offset:1648
	global_load_dwordx2 v[64:65], v[98:99], off offset:2040
	ds_write2_b64 v114, v[24:25], v[2:3] offset0:59 offset1:108
	s_movk_i32 s8, 0x93
	s_waitcnt vmcnt(16)
	v_mul_f32_e32 v2, v35, v57
	v_mul_f32_e32 v3, v34, v57
	v_add_co_u32_e32 v102, vcc, s8, v112
	v_fmac_f32_e32 v2, v34, v56
	v_fma_f32 v3, v35, v56, -v3
	v_mad_u64_u32 v[4:5], s[8:9], s12, v192, v[4:5]
	ds_write2_b64 v193, v[28:29], v[2:3] offset0:98 offset1:147
	s_waitcnt vmcnt(15)
	v_mul_f32_e32 v2, v37, v73
	v_mul_f32_e32 v3, v36, v73
	v_add_u32_e32 v5, s6, v5
	v_fmac_f32_e32 v2, v36, v72
	v_fma_f32 v3, v37, v72, -v3
	global_load_dwordx2 v[16:17], v[4:5], off
	global_load_dwordx2 v[36:37], v[0:1], off offset:1608
	v_mad_u64_u32 v[4:5], s[8:9], s12, v192, v[4:5]
	v_accvgpr_write_b32 a56, v72
	v_add_u32_e32 v5, s6, v5
	v_accvgpr_write_b32 a58, v56
	v_accvgpr_write_b32 a57, v73
	global_load_dwordx2 v[72:73], v[0:1], off offset:2000
	global_load_dwordx2 v[56:57], v[0:1], off offset:2392
	global_load_dwordx2 v[20:21], v[4:5], off
	s_movk_i32 s8, 0xc4
	v_add_co_u32_e32 v230, vcc, s8, v112
	v_mad_u64_u32 v[4:5], s[8:9], s12, v192, v[4:5]
	v_add_u32_e32 v5, s6, v5
	global_load_dwordx2 v[24:25], v[4:5], off
	v_mad_u64_u32 v[4:5], s[8:9], s12, v192, v[4:5]
	v_add_u32_e32 v26, 0xc00, v193
	v_add_u32_e32 v5, s6, v5
	v_mov_b32_e32 v35, 0xffffc138
	v_mov_b32_e32 v96, v6
	s_waitcnt vmcnt(19)
	v_mul_f32_e32 v6, v39, v89
	v_mul_f32_e32 v7, v38, v89
	v_fmac_f32_e32 v6, v38, v88
	v_fma_f32 v7, v39, v88, -v7
	v_accvgpr_write_b32 a44, v50
	s_waitcnt vmcnt(15)
	v_mul_f32_e32 v0, v9, v87
	s_waitcnt vmcnt(10)
	v_mul_f32_e32 v22, v13, v51
	v_fmac_f32_e32 v22, v12, v50
	v_mul_f32_e32 v12, v12, v51
	v_fma_f32 v23, v13, v50, -v12
	v_mul_f32_e32 v1, v8, v87
	s_waitcnt vmcnt(9)
	v_mul_f32_e32 v12, v41, v75
	v_mul_f32_e32 v13, v40, v75
	v_fmac_f32_e32 v12, v40, v74
	v_fma_f32 v13, v41, v74, -v13
	ds_write2_b64 v26, v[2:3], v[12:13] offset0:106 offset1:155
	global_load_dwordx2 v[12:13], v[4:5], off
	v_mad_u64_u32 v[4:5], s[8:9], s12, v35, v[4:5]
	s_waitcnt vmcnt(9)
	v_mul_f32_e32 v2, v19, v81
	v_mul_f32_e32 v3, v18, v81
	v_fmac_f32_e32 v2, v18, v80
	v_fma_f32 v3, v19, v80, -v3
	v_add_u32_e32 v5, s7, v5
	ds_write2_b64 v115, v[6:7], v[2:3] offset0:65 offset1:114
	v_mad_u64_u32 v[2:3], s[8:9], s12, v192, v[4:5]
	v_add_u32_e32 v3, s6, v3
	global_load_dwordx2 v[18:19], v[4:5], off
	v_accvgpr_write_b32 a45, v51
	global_load_dwordx2 v[4:5], v[2:3], off
	v_mad_u64_u32 v[2:3], s[8:9], s12, v192, v[2:3]
	v_add_u32_e32 v3, s6, v3
	global_load_dwordx2 v[6:7], v[2:3], off
	v_mad_u64_u32 v[2:3], s[8:9], s12, v192, v[2:3]
	v_add_u32_e32 v3, s6, v3
	v_mov_b32_e32 v50, v26
	global_load_dwordx2 v[26:27], v[2:3], off
	v_mad_u64_u32 v[2:3], s[8:9], s12, v192, v[2:3]
	v_fmac_f32_e32 v0, v8, v86
	v_fma_f32 v1, v9, v86, -v1
	v_mul_f32_e32 v8, v11, v77
	v_mul_f32_e32 v9, v10, v77
	v_add_u32_e32 v3, s6, v3
	v_fmac_f32_e32 v8, v10, v76
	v_fma_f32 v9, v11, v76, -v9
	v_mul_f32_e32 v10, v15, v83
	v_mul_f32_e32 v11, v14, v83
	global_load_dwordx2 v[28:29], v[2:3], off
	v_mad_u64_u32 v[2:3], s[8:9], s12, v192, v[2:3]
	v_fmac_f32_e32 v10, v14, v82
	v_fma_f32 v11, v15, v82, -v11
	v_mul_f32_e32 v14, v31, v85
	v_mul_f32_e32 v15, v30, v85
	v_add_u32_e32 v3, s6, v3
	v_fmac_f32_e32 v14, v30, v84
	v_fma_f32 v15, v31, v84, -v15
	global_load_dwordx2 v[30:31], v[2:3], off
	v_mad_u64_u32 v[2:3], s[8:9], s12, v192, v[2:3]
	v_add_u32_e32 v3, s6, v3
	global_load_dwordx2 v[32:33], v[2:3], off
	v_mad_u64_u32 v[2:3], s[8:9], s12, v35, v[2:3]
	s_waitcnt vmcnt(12)
	v_pk_mov_b32 v[38:39], v[36:37], v[36:37] op_sel:[0,1]
	v_add_u32_e32 v3, s7, v3
	v_mul_f32_e32 v34, v17, v39
	global_load_dwordx2 v[36:37], v[2:3], off
	v_mad_u64_u32 v[2:3], s[8:9], s12, v192, v[2:3]
	v_fmac_f32_e32 v34, v16, v38
	v_mul_f32_e32 v16, v16, v39
	v_add_u32_e32 v3, s6, v3
	v_fma_f32 v35, v17, v38, -v16
	global_load_dwordx2 v[16:17], v[2:3], off
	v_mad_u64_u32 v[2:3], s[8:9], s12, v192, v[2:3]
	v_add_u32_e32 v3, s6, v3
	ds_write2_b64 v116, v[0:1], v[34:35] offset0:152 offset1:201
	global_load_dwordx2 v[34:35], v[2:3], off
	v_mad_u64_u32 v[2:3], s[8:9], s12, v192, v[2:3]
	v_accvgpr_write_b32 a43, v39
	v_add_u32_e32 v3, s6, v3
	v_accvgpr_write_b32 a42, v38
	s_waitcnt vmcnt(12)
	v_mul_f32_e32 v0, v21, v67
	global_load_dwordx2 v[38:39], v[2:3], off
	v_mul_f32_e32 v1, v20, v67
	v_mad_u64_u32 v[2:3], s[8:9], s12, v192, v[2:3]
	v_fmac_f32_e32 v0, v20, v66
	v_fma_f32 v1, v21, v66, -v1
	v_add_u32_e32 v3, s6, v3
	v_add_u32_e32 v40, 0x2c00, v193
	global_load_dwordx2 v[20:21], v[2:3], off
	ds_write2_b64 v40, v[8:9], v[0:1] offset0:111 offset1:160
	v_mad_u64_u32 v[0:1], s[8:9], s12, v192, v[2:3]
	v_add_u32_e32 v1, s6, v1
	global_load_dwordx2 v[2:3], v[0:1], off
	v_mad_u64_u32 v[0:1], s[8:9], s12, v192, v[0:1]
	v_add_u32_e32 v1, s6, v1
	v_accvgpr_write_b32 a1, v40
	global_load_dwordx2 v[0:1], v[0:1], off
	s_nop 0
	global_load_dwordx2 v[40:41], v[98:99], off offset:2432
	s_waitcnt vmcnt(16)
	v_mul_f32_e32 v8, v25, v71
	v_mul_f32_e32 v9, v24, v71
	v_fmac_f32_e32 v8, v24, v70
	v_fma_f32 v9, v25, v70, -v9
	v_add_u32_e32 v24, 0x3800, v193
	ds_write2_b64 v24, v[10:11], v[8:9] offset0:70 offset1:119
	s_waitcnt vmcnt(15)
	v_mul_f32_e32 v8, v13, v79
	v_mul_f32_e32 v9, v12, v79
	v_fmac_f32_e32 v8, v12, v78
	v_fma_f32 v9, v13, v78, -v9
	ds_write2_b64 v114, v[14:15], v[8:9] offset0:157 offset1:206
	s_waitcnt vmcnt(14)
	v_mul_f32_e32 v8, v19, v45
	v_mul_f32_e32 v9, v18, v45
	v_fmac_f32_e32 v8, v18, v44
	v_fma_f32 v9, v19, v44, -v9
	ds_write2_b64 v193, v[22:23], v[8:9] offset0:196 offset1:245
	s_waitcnt vmcnt(13)
	v_mul_f32_e32 v8, v5, v59
	v_fmac_f32_e32 v8, v4, v58
	v_mul_f32_e32 v4, v4, v59
	v_fma_f32 v9, v5, v58, -v4
	s_waitcnt vmcnt(12)
	v_mul_f32_e32 v4, v7, v69
	v_mul_f32_e32 v5, v6, v69
	v_fmac_f32_e32 v4, v6, v68
	v_fma_f32 v5, v7, v68, -v5
	s_waitcnt vmcnt(11)
	v_mul_f32_e32 v6, v27, v73
	v_mul_f32_e32 v7, v26, v73
	v_fmac_f32_e32 v6, v26, v72
	;; [unrolled: 5-line block ×3, first 2 shown]
	v_fma_f32 v11, v29, v60, -v11
	s_waitcnt vmcnt(9)
	v_mul_f32_e32 v12, v31, v63
	v_mul_f32_e32 v13, v30, v63
	v_accvgpr_write_b32 a60, v92
	v_fmac_f32_e32 v12, v30, v62
	s_waitcnt vmcnt(8)
	v_mul_f32_e32 v14, v33, v65
	v_mul_f32_e32 v15, v32, v65
	v_fma_f32 v13, v31, v62, -v13
	v_fmac_f32_e32 v14, v32, v64
	v_fma_f32 v15, v33, v64, -v15
	v_accvgpr_write_b32 a62, v90
	s_waitcnt vmcnt(7)
	v_mul_f32_e32 v18, v37, v43
	v_mul_f32_e32 v19, v36, v43
	v_fmac_f32_e32 v18, v36, v42
	v_fma_f32 v19, v37, v42, -v19
	ds_write_b64 v193, v[18:19] offset:2352
	v_accvgpr_write_b32 a61, v93
	v_accvgpr_write_b32 a54, v88
	s_waitcnt vmcnt(6)
	v_mul_f32_e32 v18, v17, v47
	v_fmac_f32_e32 v18, v16, v46
	v_mul_f32_e32 v16, v16, v47
	v_fma_f32 v19, v17, v46, -v16
	v_add_u32_e32 v16, 0x1000, v193
	ds_write2_b64 v16, v[8:9], v[18:19] offset0:76 offset1:125
	s_waitcnt vmcnt(5)
	v_mul_f32_e32 v8, v35, v49
	v_mul_f32_e32 v9, v34, v49
	v_fmac_f32_e32 v8, v34, v48
	v_fma_f32 v9, v35, v48, -v9
	ds_write2_b64 v115, v[4:5], v[8:9] offset0:163 offset1:212
	v_add_u32_e32 v8, 0x2400, v193
	s_waitcnt vmcnt(4)
	v_mul_f32_e32 v4, v39, v57
	v_mul_f32_e32 v5, v38, v57
	v_fmac_f32_e32 v4, v38, v56
	v_fma_f32 v5, v39, v56, -v5
	ds_write2_b64 v8, v[6:7], v[4:5] offset0:122 offset1:171
	v_add_u32_e32 v6, 0x3000, v193
	v_accvgpr_write_b32 a40, v74
	v_accvgpr_write_b32 a22, v72
	s_waitcnt vmcnt(3)
	v_mul_f32_e32 v4, v21, v53
	v_mul_f32_e32 v5, v20, v53
	v_fmac_f32_e32 v4, v20, v52
	v_fma_f32 v5, v21, v52, -v5
	ds_write2_b64 v6, v[10:11], v[4:5] offset0:81 offset1:130
	s_waitcnt vmcnt(2)
	v_mul_f32_e32 v4, v3, v55
	v_fmac_f32_e32 v4, v2, v54
	v_mul_f32_e32 v2, v2, v55
	v_fma_f32 v5, v3, v54, -v2
	v_mov_b32_e32 v22, v8
	s_waitcnt vmcnt(0)
	v_mul_f32_e32 v2, v1, v41
	v_fmac_f32_e32 v2, v0, v40
	v_mul_f32_e32 v0, v0, v41
	v_fma_f32 v3, v1, v40, -v0
	v_add_u32_e32 v0, 0x4400, v193
	v_mov_b32_e32 v9, v6
	ds_write2_b64 v24, v[12:13], v[4:5] offset0:168 offset1:217
	ds_write2_b64 v0, v[14:15], v[2:3] offset0:127 offset1:176
	v_accvgpr_write_b32 a100, v0
	s_waitcnt lgkmcnt(0)
	; wave barrier
	s_waitcnt lgkmcnt(0)
	v_mov_b32_e32 v12, v94
	ds_read2_b64 v[0:3], v94 offset0:38 offset1:87
	ds_read2_b64 v[92:95], v16 offset0:174 offset1:223
	v_add_u32_e32 v8, 0x1c00, v193
	v_accvgpr_write_b32 a63, v91
	v_accvgpr_write_b32 a55, v89
	;; [unrolled: 1-line block ×4, first 2 shown]
	ds_read2_b64 v[88:91], v193 offset1:49
	ds_read2_b64 v[4:7], v8 offset0:84 offset1:133
	v_mov_b32_e32 v117, v8
	ds_read2_b64 v[104:107], v97 offset0:92 offset1:141
	v_mov_b32_e32 v13, v9
	ds_read2_b64 v[8:11], v9 offset0:130 offset1:179
	ds_read2_b64 v[108:111], v114 offset0:10 offset1:59
	ds_read2_b64 v[72:75], v12 offset0:136 offset1:185
	v_accvgpr_write_b32 a48, v82
	v_accvgpr_write_b32 a46, v84
	;; [unrolled: 1-line block ×5, first 2 shown]
	s_waitcnt lgkmcnt(1)
	v_add_f32_e32 v82, v2, v108
	v_add_f32_e32 v84, v92, v10
	v_accvgpr_write_b32 a53, v87
	v_accvgpr_write_b32 a50, v76
	;; [unrolled: 1-line block ×5, first 2 shown]
	v_add_f32_e32 v83, v3, v109
	v_add_f32_e32 v85, v93, v11
	v_sub_f32_e32 v10, v92, v10
	v_add_f32_e32 v86, v6, v104
	v_sub_f32_e32 v6, v104, v6
	v_add_f32_e32 v92, v84, v82
	v_accvgpr_write_b32 a51, v77
	v_accvgpr_write_b32 a39, v71
	;; [unrolled: 1-line block ×10, first 2 shown]
	ds_read2_b64 v[68:71], v116 offset0:54 offset1:103
	ds_read2_b64 v[76:79], v96 offset0:100 offset1:149
	v_mov_b32_e32 v119, v96
	v_sub_f32_e32 v2, v2, v108
	v_sub_f32_e32 v11, v93, v11
	v_add_f32_e32 v87, v7, v105
	v_sub_f32_e32 v7, v105, v7
	v_add_f32_e32 v93, v85, v83
	v_sub_f32_e32 v96, v84, v82
	v_sub_f32_e32 v82, v82, v86
	;; [unrolled: 1-line block ×3, first 2 shown]
	v_add_f32_e32 v98, v6, v10
	v_add_f32_e32 v86, v86, v92
	s_movk_i32 s6, 0xf5
	v_accvgpr_write_b32 a27, v59
	v_accvgpr_write_b32 a21, v61
	;; [unrolled: 1-line block ×6, first 2 shown]
	ds_read2_b64 v[52:55], v193 offset0:98 offset1:147
	ds_read2_b64 v[60:63], v115 offset0:16 offset1:65
	;; [unrolled: 1-line block ×3, first 2 shown]
	v_mov_b32_e32 v246, v97
	v_sub_f32_e32 v3, v3, v109
	v_sub_f32_e32 v97, v85, v83
	v_sub_f32_e32 v83, v83, v87
	v_sub_f32_e32 v85, v87, v85
	v_add_f32_e32 v99, v7, v11
	v_sub_f32_e32 v100, v6, v10
	v_sub_f32_e32 v6, v2, v6
	;; [unrolled: 1-line block ×3, first 2 shown]
	v_add_f32_e32 v87, v87, v93
	v_add_f32_e32 v92, v98, v2
	v_add_f32_e32 v2, v86, v88
	v_add_co_u32_e32 v229, vcc, s6, v112
	s_movk_i32 s6, 0x126
	v_sub_f32_e32 v101, v7, v11
	v_sub_f32_e32 v7, v3, v7
	;; [unrolled: 1-line block ×3, first 2 shown]
	v_add_f32_e32 v93, v99, v3
	v_add_f32_e32 v3, v87, v89
	v_mov_b32_e32 v104, v2
	v_add_co_u32_e32 v228, vcc, s6, v112
	v_mul_f32_e32 v82, 0x3f4a47b2, v82
	v_mul_f32_e32 v88, 0x3d64c772, v84
	;; [unrolled: 1-line block ×4, first 2 shown]
	v_fmac_f32_e32 v104, 0xbf955555, v86
	v_mov_b32_e32 v86, v3
	s_mov_b32 s6, 0x3f3bfb3b
	s_mov_b32 s7, 0xbf3bfb3b
	;; [unrolled: 1-line block ×3, first 2 shown]
	v_mul_f32_e32 v83, 0x3f4a47b2, v83
	v_mul_f32_e32 v98, 0xbf08b237, v100
	;; [unrolled: 1-line block ×3, first 2 shown]
	v_fmac_f32_e32 v86, 0xbf955555, v87
	v_fma_f32 v87, v96, s6, -v88
	v_fma_f32 v88, v97, s6, -v89
	;; [unrolled: 1-line block ×4, first 2 shown]
	v_mul_f32_e32 v101, 0xbf5ff5aa, v11
	v_fmac_f32_e32 v82, 0x3d64c772, v84
	v_fma_f32 v84, v97, s7, -v83
	v_fmac_f32_e32 v83, 0x3d64c772, v85
	v_fma_f32 v85, v10, s9, -v98
	v_fmac_f32_e32 v98, 0x3eae86e6, v6
	v_fmac_f32_e32 v99, 0x3eae86e6, v7
	;; [unrolled: 1-line block ×3, first 2 shown]
	v_add_f32_e32 v6, v87, v104
	v_fmac_f32_e32 v96, 0x3ee1c552, v93
	v_fmac_f32_e32 v101, 0xbeae86e6, v7
	v_add_f32_e32 v97, v82, v104
	v_add_f32_e32 v105, v83, v86
	;; [unrolled: 1-line block ×4, first 2 shown]
	v_fmac_f32_e32 v98, 0x3ee1c552, v92
	v_fmac_f32_e32 v99, 0x3ee1c552, v93
	;; [unrolled: 1-line block ×4, first 2 shown]
	v_sub_f32_e32 v10, v6, v96
	v_add_f32_e32 v86, v96, v6
	s_waitcnt lgkmcnt(5)
	v_add_f32_e32 v92, v72, v110
	s_waitcnt lgkmcnt(3)
	v_add_f32_e32 v96, v94, v76
	v_add_f32_e32 v104, v89, v104
	v_fmac_f32_e32 v101, 0x3ee1c552, v93
	v_add_f32_e32 v82, v97, v99
	v_sub_f32_e32 v83, v105, v98
	v_sub_f32_e32 v89, v84, v100
	v_add_f32_e32 v11, v85, v7
	v_sub_f32_e32 v87, v7, v85
	v_add_f32_e32 v7, v100, v84
	;; [unrolled: 2-line block ×3, first 2 shown]
	v_add_f32_e32 v93, v73, v111
	v_add_f32_e32 v97, v95, v77
	v_sub_f32_e32 v76, v94, v76
	v_add_f32_e32 v94, v68, v106
	v_add_f32_e32 v98, v96, v92
	v_sub_f32_e32 v72, v72, v110
	v_sub_f32_e32 v77, v95, v77
	v_add_f32_e32 v95, v69, v107
	v_sub_f32_e32 v68, v106, v68
	v_add_f32_e32 v99, v97, v93
	v_sub_f32_e32 v100, v96, v92
	v_sub_f32_e32 v92, v92, v94
	;; [unrolled: 1-line block ×3, first 2 shown]
	v_add_f32_e32 v94, v94, v98
	v_accvgpr_write_b32 a36, v66
	v_accvgpr_write_b32 a28, v44
	;; [unrolled: 1-line block ×4, first 2 shown]
	v_add_f32_e32 v88, v101, v104
	v_sub_f32_e32 v6, v104, v101
	v_sub_f32_e32 v73, v73, v111
	;; [unrolled: 1-line block ×6, first 2 shown]
	v_add_f32_e32 v104, v68, v76
	v_sub_f32_e32 v106, v68, v76
	v_sub_f32_e32 v108, v72, v68
	v_add_f32_e32 v95, v95, v99
	v_add_f32_e32 v68, v94, v90
	v_accvgpr_write_b32 a37, v67
	v_accvgpr_write_b32 a29, v45
	;; [unrolled: 1-line block ×4, first 2 shown]
	ds_read2_b64 v[64:67], v114 offset0:108 offset1:157
	ds_read2_b64 v[44:47], v50 offset0:106 offset1:155
	v_add_f32_e32 v105, v69, v77
	v_sub_f32_e32 v107, v69, v77
	v_sub_f32_e32 v109, v73, v69
	v_add_f32_e32 v69, v95, v91
	v_mul_f32_e32 v98, 0xbf08b237, v106
	v_mov_b32_e32 v106, v68
	v_sub_f32_e32 v76, v76, v72
	v_mul_f32_e32 v90, 0x3f4a47b2, v92
	v_mul_f32_e32 v91, 0x3f4a47b2, v93
	;; [unrolled: 1-line block ×4, first 2 shown]
	v_fmac_f32_e32 v106, 0xbf955555, v94
	v_mov_b32_e32 v94, v69
	v_sub_f32_e32 v77, v77, v73
	v_add_f32_e32 v72, v104, v72
	v_mul_f32_e32 v99, 0xbf08b237, v107
	v_mul_f32_e32 v104, 0xbf5ff5aa, v76
	v_fmac_f32_e32 v94, 0xbf955555, v95
	v_fma_f32 v92, v100, s6, -v92
	v_fma_f32 v93, v101, s6, -v93
	;; [unrolled: 1-line block ×3, first 2 shown]
	v_fmac_f32_e32 v90, 0x3d64c772, v96
	v_fma_f32 v96, v101, s7, -v91
	v_fmac_f32_e32 v91, 0x3d64c772, v97
	v_fma_f32 v100, v76, s9, -v98
	v_fmac_f32_e32 v98, 0x3eae86e6, v108
	v_add_f32_e32 v73, v105, v73
	v_fma_f32 v101, v77, s9, -v99
	v_fmac_f32_e32 v99, 0x3eae86e6, v109
	v_fmac_f32_e32 v104, 0xbeae86e6, v108
	v_add_f32_e32 v108, v91, v94
	v_add_f32_e32 v93, v93, v94
	v_fmac_f32_e32 v98, 0x3ee1c552, v72
	v_fmac_f32_e32 v100, 0x3ee1c552, v72
	v_mul_f32_e32 v105, 0xbf5ff5aa, v77
	v_add_f32_e32 v107, v90, v106
	v_add_f32_e32 v92, v92, v106
	;; [unrolled: 1-line block ×3, first 2 shown]
	v_fmac_f32_e32 v99, 0x3ee1c552, v73
	v_fmac_f32_e32 v101, 0x3ee1c552, v73
	v_sub_f32_e32 v91, v108, v98
	v_add_f32_e32 v77, v100, v93
	v_sub_f32_e32 v95, v93, v100
	v_add_f32_e32 v93, v98, v108
	s_waitcnt lgkmcnt(1)
	v_add_f32_e32 v98, v74, v64
	v_sub_f32_e32 v64, v74, v64
	v_add_f32_e32 v74, v60, v78
	v_fmac_f32_e32 v105, 0xbeae86e6, v109
	v_add_f32_e32 v109, v96, v94
	v_add_f32_e32 v90, v107, v99
	v_sub_f32_e32 v76, v92, v101
	v_add_f32_e32 v94, v101, v92
	v_sub_f32_e32 v92, v107, v99
	;; [unrolled: 2-line block ×5, first 2 shown]
	v_add_f32_e32 v70, v74, v98
	v_accvgpr_write_b32 a14, v42
	v_accvgpr_write_b32 a103, v41
	v_sub_f32_e32 v61, v61, v79
	v_add_f32_e32 v79, v71, v57
	v_sub_f32_e32 v57, v57, v71
	v_add_f32_e32 v71, v75, v99
	v_add_f32_e32 v70, v78, v70
	v_accvgpr_write_b32 a15, v43
	v_accvgpr_write_b32 a102, v40
	ds_read2_b64 v[40:43], v116 offset0:152 offset1:201
	v_add_f32_e32 v71, v79, v71
	v_add_f32_e32 v52, v70, v52
	v_accvgpr_write_b32 a34, v80
	v_accvgpr_write_b32 a10, v48
	v_fmac_f32_e32 v105, 0x3ee1c552, v73
	v_sub_f32_e32 v100, v74, v98
	v_sub_f32_e32 v101, v75, v99
	;; [unrolled: 1-line block ×6, first 2 shown]
	v_add_f32_e32 v53, v71, v53
	v_mov_b32_e32 v108, v52
	v_accvgpr_write_b32 a35, v81
	v_accvgpr_write_b32 a11, v49
	v_mov_b32_e32 v121, v50
	v_mov_b32_e32 v80, v24
	ds_read2_b64 v[48:51], v24 offset0:70 offset1:119
	ds_read2_b64 v[24:27], v193 offset0:196 offset1:245
	;; [unrolled: 1-line block ×4, first 2 shown]
	v_fmac_f32_e32 v104, 0x3ee1c552, v72
	v_add_f32_e32 v96, v105, v106
	v_sub_f32_e32 v72, v106, v105
	v_add_f32_e32 v105, v57, v61
	v_sub_f32_e32 v107, v57, v61
	v_sub_f32_e32 v61, v61, v65
	v_mul_f32_e32 v78, 0x3f4a47b2, v98
	v_mul_f32_e32 v79, 0x3f4a47b2, v99
	;; [unrolled: 1-line block ×4, first 2 shown]
	v_fmac_f32_e32 v108, 0xbf955555, v70
	v_mov_b32_e32 v70, v53
	v_sub_f32_e32 v97, v109, v104
	v_add_f32_e32 v73, v104, v109
	v_add_f32_e32 v104, v56, v60
	v_sub_f32_e32 v106, v56, v60
	v_sub_f32_e32 v57, v65, v57
	;; [unrolled: 1-line block ×3, first 2 shown]
	v_add_f32_e32 v65, v105, v65
	v_mul_f32_e32 v105, 0xbf08b237, v107
	v_mul_f32_e32 v107, 0xbf5ff5aa, v61
	v_fmac_f32_e32 v70, 0xbf955555, v71
	v_fma_f32 v71, v100, s6, -v98
	v_fma_f32 v98, v101, s6, -v99
	v_sub_f32_e32 v56, v64, v56
	v_add_f32_e32 v64, v104, v64
	v_mul_f32_e32 v104, 0xbf08b237, v106
	v_mul_f32_e32 v106, 0xbf5ff5aa, v60
	v_fma_f32 v99, v100, s7, -v78
	v_fma_f32 v100, v61, s9, -v105
	v_fmac_f32_e32 v105, 0x3eae86e6, v57
	v_fmac_f32_e32 v107, 0xbeae86e6, v57
	v_add_f32_e32 v57, v98, v70
	s_waitcnt lgkmcnt(5)
	v_add_f32_e32 v98, v44, v66
	v_sub_f32_e32 v44, v44, v66
	s_waitcnt lgkmcnt(3)
	v_add_f32_e32 v66, v62, v48
	v_fmac_f32_e32 v78, 0x3d64c772, v74
	v_fma_f32 v74, v101, s7, -v79
	v_fmac_f32_e32 v79, 0x3d64c772, v75
	v_fma_f32 v75, v60, s9, -v104
	v_fmac_f32_e32 v104, 0x3eae86e6, v56
	v_fmac_f32_e32 v106, 0xbeae86e6, v56
	v_add_f32_e32 v56, v71, v108
	v_add_f32_e32 v71, v99, v108
	;; [unrolled: 1-line block ×3, first 2 shown]
	v_sub_f32_e32 v45, v45, v67
	v_add_f32_e32 v67, v63, v49
	v_sub_f32_e32 v48, v62, v48
	v_add_f32_e32 v62, v40, v58
	;; [unrolled: 2-line block ×3, first 2 shown]
	v_add_f32_e32 v109, v79, v70
	v_add_f32_e32 v70, v74, v70
	v_fmac_f32_e32 v104, 0x3ee1c552, v64
	v_fmac_f32_e32 v75, 0x3ee1c552, v64
	;; [unrolled: 1-line block ×5, first 2 shown]
	v_sub_f32_e32 v49, v63, v49
	v_add_f32_e32 v63, v41, v59
	v_sub_f32_e32 v41, v59, v41
	v_add_f32_e32 v59, v67, v99
	v_add_f32_e32 v58, v62, v58
	;; [unrolled: 1-line block ×3, first 2 shown]
	v_fmac_f32_e32 v105, 0x3ee1c552, v65
	v_sub_f32_e32 v65, v109, v104
	v_add_f32_e32 v78, v107, v71
	v_sub_f32_e32 v79, v70, v106
	v_sub_f32_e32 v60, v56, v100
	v_add_f32_e32 v61, v75, v57
	v_add_f32_e32 v74, v100, v56
	v_sub_f32_e32 v75, v57, v75
	v_sub_f32_e32 v56, v71, v107
	v_add_f32_e32 v57, v106, v70
	;; [unrolled: 4-line block ×3, first 2 shown]
	v_sub_f32_e32 v106, v40, v48
	v_sub_f32_e32 v108, v44, v40
	v_add_f32_e32 v59, v63, v59
	v_add_f32_e32 v40, v58, v54
	v_mov_b32_e32 v14, v16
	ds_read2_b64 v[36:39], v114 offset0:206 offset1:255
	ds_read2_b64 v[16:19], v16 offset0:76 offset1:125
	v_add_f32_e32 v64, v101, v105
	v_sub_f32_e32 v70, v101, v105
	v_sub_f32_e32 v101, v67, v99
	;; [unrolled: 1-line block ×5, first 2 shown]
	v_add_f32_e32 v105, v41, v49
	v_sub_f32_e32 v107, v41, v49
	v_sub_f32_e32 v109, v45, v41
	v_add_f32_e32 v41, v59, v55
	v_mul_f32_e32 v54, 0x3f4a47b2, v98
	v_mul_f32_e32 v98, 0xbf08b237, v106
	v_mov_b32_e32 v106, v40
	v_sub_f32_e32 v48, v48, v44
	v_sub_f32_e32 v49, v49, v45
	v_mul_f32_e32 v55, 0x3f4a47b2, v99
	v_mul_f32_e32 v62, 0x3d64c772, v66
	;; [unrolled: 1-line block ×4, first 2 shown]
	v_fmac_f32_e32 v106, 0xbf955555, v58
	v_mov_b32_e32 v58, v41
	v_add_f32_e32 v44, v104, v44
	v_add_f32_e32 v45, v105, v45
	v_mul_f32_e32 v104, 0xbf5ff5aa, v48
	v_fmac_f32_e32 v58, 0xbf955555, v59
	v_fma_f32 v59, v100, s6, -v62
	v_fma_f32 v62, v101, s6, -v63
	;; [unrolled: 1-line block ×3, first 2 shown]
	v_fmac_f32_e32 v54, 0x3d64c772, v66
	v_fma_f32 v66, v101, s7, -v55
	v_fmac_f32_e32 v55, 0x3d64c772, v67
	v_fma_f32 v100, v48, s9, -v98
	;; [unrolled: 2-line block ×3, first 2 shown]
	v_mul_f32_e32 v105, 0xbf5ff5aa, v49
	v_fmac_f32_e32 v99, 0x3eae86e6, v109
	v_fmac_f32_e32 v104, 0xbeae86e6, v108
	v_add_f32_e32 v108, v55, v58
	v_add_f32_e32 v59, v59, v106
	v_fmac_f32_e32 v98, 0x3ee1c552, v44
	v_fmac_f32_e32 v101, 0x3ee1c552, v45
	;; [unrolled: 1-line block ×3, first 2 shown]
	v_add_f32_e32 v107, v54, v106
	v_add_f32_e32 v109, v62, v58
	;; [unrolled: 1-line block ×3, first 2 shown]
	v_fmac_f32_e32 v99, 0x3ee1c552, v45
	v_fmac_f32_e32 v104, 0x3ee1c552, v44
	v_sub_f32_e32 v55, v108, v98
	v_sub_f32_e32 v48, v59, v101
	v_add_f32_e32 v62, v101, v59
	v_add_f32_e32 v59, v98, v108
	s_waitcnt lgkmcnt(1)
	v_add_f32_e32 v98, v46, v36
	v_sub_f32_e32 v36, v46, v36
	v_add_f32_e32 v46, v32, v50
	v_fmac_f32_e32 v105, 0x3ee1c552, v45
	v_add_f32_e32 v54, v107, v99
	v_sub_f32_e32 v67, v58, v104
	v_add_f32_e32 v45, v104, v58
	v_sub_f32_e32 v58, v107, v99
	;; [unrolled: 2-line block ×7, first 2 shown]
	v_add_f32_e32 v43, v47, v99
	v_add_f32_e32 v42, v50, v42
	v_mov_b32_e32 v122, v12
	v_mov_b32_e32 v242, v13
	;; [unrolled: 1-line block ×3, first 2 shown]
	ds_read2_b64 v[12:15], v22 offset0:122 offset1:171
	v_mov_b32_e32 v118, v22
	ds_read2_b64 v[20:23], v80 offset0:168 offset1:217
	v_add_f32_e32 v106, v63, v106
	v_fmac_f32_e32 v100, 0x3ee1c552, v44
	v_add_f32_e32 v43, v51, v43
	v_add_f32_e32 v24, v42, v24
	;; [unrolled: 1-line block ×4, first 2 shown]
	v_sub_f32_e32 v63, v109, v100
	v_sub_f32_e32 v44, v106, v105
	;; [unrolled: 1-line block ×8, first 2 shown]
	v_add_f32_e32 v104, v28, v32
	v_sub_f32_e32 v106, v28, v32
	v_add_f32_e32 v25, v43, v25
	v_mov_b32_e32 v108, v24
	v_add_f32_e32 v105, v29, v33
	v_sub_f32_e32 v107, v29, v33
	v_sub_f32_e32 v28, v36, v28
	;; [unrolled: 1-line block ×4, first 2 shown]
	v_add_f32_e32 v36, v104, v36
	v_mul_f32_e32 v50, 0x3f4a47b2, v98
	v_mul_f32_e32 v51, 0x3f4a47b2, v99
	;; [unrolled: 1-line block ×5, first 2 shown]
	v_fmac_f32_e32 v108, 0xbf955555, v42
	v_mov_b32_e32 v42, v25
	v_sub_f32_e32 v29, v37, v29
	v_add_f32_e32 v37, v105, v37
	v_mul_f32_e32 v105, 0xbf08b237, v107
	v_mul_f32_e32 v107, 0xbf5ff5aa, v33
	v_fmac_f32_e32 v42, 0xbf955555, v43
	v_fma_f32 v43, v100, s6, -v98
	v_fma_f32 v98, v101, s6, -v99
	;; [unrolled: 1-line block ×3, first 2 shown]
	v_fmac_f32_e32 v50, 0x3d64c772, v46
	v_fma_f32 v46, v101, s7, -v51
	v_fmac_f32_e32 v51, 0x3d64c772, v47
	v_fma_f32 v47, v32, s9, -v104
	v_mul_f32_e32 v106, 0xbf5ff5aa, v32
	v_fmac_f32_e32 v107, 0xbeae86e6, v29
	v_add_f32_e32 v98, v98, v42
	v_fmac_f32_e32 v47, 0x3ee1c552, v36
	v_fmac_f32_e32 v104, 0x3eae86e6, v28
	v_fma_f32 v100, v33, s9, -v105
	v_fmac_f32_e32 v106, 0xbeae86e6, v28
	v_add_f32_e32 v99, v99, v108
	v_fmac_f32_e32 v107, 0x3ee1c552, v37
	v_add_f32_e32 v33, v47, v98
	v_sub_f32_e32 v47, v98, v47
	s_waitcnt lgkmcnt(2)
	v_add_f32_e32 v98, v16, v38
	v_sub_f32_e32 v16, v16, v38
	s_waitcnt lgkmcnt(0)
	v_add_f32_e32 v38, v34, v20
	v_add_f32_e32 v50, v50, v108
	v_add_f32_e32 v51, v51, v42
	v_add_f32_e32 v101, v43, v108
	v_add_f32_e32 v108, v46, v42
	v_fmac_f32_e32 v104, 0x3ee1c552, v36
	v_fmac_f32_e32 v106, 0x3ee1c552, v36
	v_add_f32_e32 v42, v107, v99
	v_sub_f32_e32 v36, v99, v107
	v_add_f32_e32 v99, v17, v39
	v_sub_f32_e32 v17, v17, v39
	;; [unrolled: 2-line block ×4, first 2 shown]
	v_add_f32_e32 v30, v38, v98
	v_fmac_f32_e32 v105, 0x3eae86e6, v29
	v_fmac_f32_e32 v100, 0x3ee1c552, v37
	v_sub_f32_e32 v21, v35, v21
	v_add_f32_e32 v35, v13, v31
	v_sub_f32_e32 v13, v31, v13
	v_add_f32_e32 v31, v39, v99
	v_add_f32_e32 v30, v34, v30
	v_mov_b32_e32 v244, v80
	ds_read_b64 v[80:81], v193 offset:18816
	v_fmac_f32_e32 v105, 0x3ee1c552, v37
	v_sub_f32_e32 v29, v51, v104
	v_sub_f32_e32 v43, v108, v106
	;; [unrolled: 1-line block ×3, first 2 shown]
	v_add_f32_e32 v46, v100, v101
	v_add_f32_e32 v37, v106, v108
	;; [unrolled: 1-line block ×3, first 2 shown]
	v_sub_f32_e32 v100, v38, v98
	v_sub_f32_e32 v98, v98, v34
	v_add_f32_e32 v104, v12, v20
	v_sub_f32_e32 v106, v12, v20
	v_sub_f32_e32 v108, v16, v12
	v_add_f32_e32 v31, v35, v31
	v_add_f32_e32 v12, v30, v26
	;; [unrolled: 1-line block ×3, first 2 shown]
	v_sub_f32_e32 v50, v50, v105
	v_sub_f32_e32 v101, v39, v99
	;; [unrolled: 1-line block ×5, first 2 shown]
	v_add_f32_e32 v105, v13, v21
	v_sub_f32_e32 v107, v13, v21
	v_sub_f32_e32 v109, v17, v13
	v_add_f32_e32 v13, v31, v27
	v_mul_f32_e32 v26, 0x3f4a47b2, v98
	v_mul_f32_e32 v98, 0xbf08b237, v106
	v_mov_b32_e32 v106, v12
	v_sub_f32_e32 v20, v20, v16
	v_sub_f32_e32 v21, v21, v17
	v_mul_f32_e32 v27, 0x3f4a47b2, v99
	v_mul_f32_e32 v34, 0x3d64c772, v38
	;; [unrolled: 1-line block ×4, first 2 shown]
	v_fmac_f32_e32 v106, 0xbf955555, v30
	v_mov_b32_e32 v30, v13
	v_add_f32_e32 v16, v104, v16
	v_add_f32_e32 v17, v105, v17
	v_mul_f32_e32 v104, 0xbf5ff5aa, v20
	v_mul_f32_e32 v105, 0xbf5ff5aa, v21
	v_fmac_f32_e32 v30, 0xbf955555, v31
	v_fma_f32 v31, v100, s6, -v34
	v_fma_f32 v34, v101, s6, -v35
	;; [unrolled: 1-line block ×3, first 2 shown]
	v_fmac_f32_e32 v26, 0x3d64c772, v38
	v_fma_f32 v38, v101, s7, -v27
	v_fmac_f32_e32 v27, 0x3d64c772, v39
	v_fma_f32 v39, v20, s9, -v98
	;; [unrolled: 2-line block ×3, first 2 shown]
	v_fmac_f32_e32 v99, 0x3eae86e6, v109
	v_fmac_f32_e32 v104, 0xbeae86e6, v108
	;; [unrolled: 1-line block ×3, first 2 shown]
	v_add_f32_e32 v107, v27, v30
	v_add_f32_e32 v31, v31, v106
	;; [unrolled: 1-line block ×3, first 2 shown]
	v_fmac_f32_e32 v98, 0x3ee1c552, v16
	v_fmac_f32_e32 v39, 0x3ee1c552, v16
	v_fmac_f32_e32 v100, 0x3ee1c552, v17
	v_add_f32_e32 v101, v26, v106
	v_add_f32_e32 v35, v35, v106
	;; [unrolled: 1-line block ×3, first 2 shown]
	v_fmac_f32_e32 v99, 0x3ee1c552, v17
	v_fmac_f32_e32 v104, 0x3ee1c552, v16
	v_fmac_f32_e32 v105, 0x3ee1c552, v17
	v_sub_f32_e32 v17, v107, v98
	v_sub_f32_e32 v26, v31, v100
	v_add_f32_e32 v27, v39, v34
	v_add_f32_e32 v30, v100, v31
	v_sub_f32_e32 v31, v34, v39
	v_add_f32_e32 v39, v98, v107
	s_waitcnt lgkmcnt(0)
	v_add_f32_e32 v98, v18, v80
	v_sub_f32_e32 v18, v18, v80
	v_add_f32_e32 v80, v4, v22
	v_add_f32_e32 v16, v101, v99
	;; [unrolled: 1-line block ×3, first 2 shown]
	v_sub_f32_e32 v21, v38, v104
	v_sub_f32_e32 v34, v35, v105
	v_add_f32_e32 v35, v104, v38
	v_sub_f32_e32 v38, v101, v99
	v_add_f32_e32 v99, v19, v81
	v_sub_f32_e32 v19, v19, v81
	v_add_f32_e32 v81, v5, v23
	v_sub_f32_e32 v4, v4, v22
	v_add_f32_e32 v22, v14, v8
	v_sub_f32_e32 v8, v8, v14
	v_add_f32_e32 v14, v80, v98
	v_sub_f32_e32 v5, v5, v23
	v_add_f32_e32 v23, v15, v9
	v_sub_f32_e32 v9, v9, v15
	v_add_f32_e32 v15, v81, v99
	v_add_f32_e32 v14, v22, v14
	v_add_f32_e32 v15, v23, v15
	;; [unrolled: 1-line block ×3, first 2 shown]
	v_sub_f32_e32 v100, v80, v98
	v_sub_f32_e32 v101, v81, v99
	;; [unrolled: 1-line block ×6, first 2 shown]
	v_add_f32_e32 v105, v9, v5
	v_sub_f32_e32 v107, v9, v5
	v_sub_f32_e32 v5, v5, v19
	v_add_f32_e32 v1, v15, v1
	v_mov_b32_e32 v108, v0
	v_add_f32_e32 v104, v8, v4
	v_sub_f32_e32 v106, v8, v4
	v_sub_f32_e32 v9, v19, v9
	;; [unrolled: 1-line block ×3, first 2 shown]
	v_add_f32_e32 v19, v105, v19
	v_mul_f32_e32 v22, 0x3f4a47b2, v98
	v_mul_f32_e32 v23, 0x3f4a47b2, v99
	;; [unrolled: 1-line block ×6, first 2 shown]
	v_fmac_f32_e32 v108, 0xbf955555, v14
	v_mov_b32_e32 v14, v1
	v_sub_f32_e32 v8, v18, v8
	v_add_f32_e32 v18, v104, v18
	v_mul_f32_e32 v104, 0xbf08b237, v106
	v_mul_f32_e32 v106, 0xbf5ff5aa, v4
	v_fmac_f32_e32 v14, 0xbf955555, v15
	v_fma_f32 v15, v100, s6, -v98
	v_fma_f32 v98, v101, s6, -v99
	;; [unrolled: 1-line block ×3, first 2 shown]
	v_fmac_f32_e32 v22, 0x3d64c772, v80
	v_fma_f32 v80, v101, s7, -v23
	v_fmac_f32_e32 v23, 0x3d64c772, v81
	v_fma_f32 v100, v5, s9, -v105
	;; [unrolled: 2-line block ×3, first 2 shown]
	v_fmac_f32_e32 v104, 0x3eae86e6, v8
	v_fmac_f32_e32 v106, 0xbeae86e6, v8
	v_add_f32_e32 v101, v22, v108
	v_add_f32_e32 v109, v23, v14
	;; [unrolled: 1-line block ×5, first 2 shown]
	v_fmac_f32_e32 v100, 0x3ee1c552, v19
	v_fmac_f32_e32 v107, 0x3ee1c552, v19
	v_add_f32_e32 v80, v80, v14
	v_fmac_f32_e32 v104, 0x3ee1c552, v18
	v_fmac_f32_e32 v81, 0x3ee1c552, v18
	;; [unrolled: 1-line block ×3, first 2 shown]
	v_add_f32_e32 v8, v107, v98
	v_sub_f32_e32 v14, v22, v100
	v_add_f32_e32 v18, v100, v22
	v_sub_f32_e32 v22, v98, v107
	v_mul_lo_u16_e32 v98, 7, v112
	v_lshlrev_b32_e32 v98, 3, v98
	s_waitcnt lgkmcnt(0)
	; wave barrier
	ds_write_b64 v98, v[2:3]
	ds_write2_b64 v98, v[82:83], v[88:89] offset0:1 offset1:2
	ds_write2_b64 v98, v[10:11], v[86:87] offset0:3 offset1:4
	;; [unrolled: 1-line block ×3, first 2 shown]
	v_mul_u32_u24_e32 v2, 7, v113
	v_lshlrev_b32_e32 v2, 3, v2
	ds_write_b64 v2, v[68:69]
	ds_write2_b64 v2, v[90:91], v[96:97] offset0:1 offset1:2
	ds_write2_b64 v2, v[76:77], v[94:95] offset0:3 offset1:4
	ds_write2_b64 v2, v[72:73], v[92:93] offset0:5 offset1:6
	v_accvgpr_write_b32 a200, v2
	v_mul_u32_u24_e32 v2, 7, v103
	v_lshlrev_b32_e32 v2, 3, v2
	ds_write_b64 v2, v[52:53]
	ds_write2_b64 v2, v[64:65], v[78:79] offset0:1 offset1:2
	ds_write2_b64 v2, v[60:61], v[74:75] offset0:3 offset1:4
	ds_write2_b64 v2, v[56:57], v[70:71] offset0:5 offset1:6
	v_accvgpr_write_b32 a187, v2
	;; [unrolled: 7-line block ×4, first 2 shown]
	v_mul_u32_u24_e32 v2, 7, v229
	v_lshlrev_b32_e32 v2, 3, v2
	v_fmac_f32_e32 v105, 0x3eae86e6, v9
	ds_write_b64 v2, v[12:13]
	ds_write2_b64 v2, v[16:17], v[20:21] offset0:1 offset1:2
	ds_write2_b64 v2, v[26:27], v[30:31] offset0:3 offset1:4
	;; [unrolled: 1-line block ×3, first 2 shown]
	v_accvgpr_write_b32 a5, v2
	v_mul_u32_u24_e32 v2, 7, v228
	v_fmac_f32_e32 v105, 0x3ee1c552, v19
	v_lshlrev_b32_e32 v2, 3, v2
	v_add_f32_e32 v4, v101, v105
	v_sub_f32_e32 v5, v109, v104
	v_sub_f32_e32 v9, v80, v106
	v_add_f32_e32 v15, v81, v23
	v_sub_f32_e32 v19, v23, v81
	v_add_f32_e32 v23, v106, v80
	;; [unrolled: 2-line block ×3, first 2 shown]
	buffer_store_dword v2, off, s[24:27], 0 ; 4-byte Folded Spill
	ds_write_b64 v2, v[0:1]
	ds_write2_b64 v2, v[4:5], v[8:9] offset0:1 offset1:2
	ds_write2_b64 v2, v[14:15], v[18:19] offset0:3 offset1:4
	;; [unrolled: 1-line block ×3, first 2 shown]
	v_mov_b32_e32 v8, 37
	v_mul_lo_u16_sdwa v0, v112, v8 dst_sel:DWORD dst_unused:UNUSED_PAD src0_sel:BYTE_0 src1_sel:DWORD
	v_sub_u16_sdwa v1, v112, v0 dst_sel:DWORD dst_unused:UNUSED_PAD src0_sel:DWORD src1_sel:BYTE_1
	v_lshrrev_b16_e32 v1, 1, v1
	v_and_b32_e32 v1, 0x7f, v1
	v_add_u16_sdwa v0, v1, v0 dst_sel:DWORD dst_unused:UNUSED_PAD src0_sel:DWORD src1_sel:BYTE_1
	v_mul_lo_u16_sdwa v1, v113, v8 dst_sel:DWORD dst_unused:UNUSED_PAD src0_sel:BYTE_0 src1_sel:DWORD
	v_sub_u16_sdwa v2, v113, v1 dst_sel:DWORD dst_unused:UNUSED_PAD src0_sel:DWORD src1_sel:BYTE_1
	v_lshrrev_b16_e32 v2, 1, v2
	v_and_b32_e32 v2, 0x7f, v2
	v_add_u16_sdwa v1, v2, v1 dst_sel:DWORD dst_unused:UNUSED_PAD src0_sel:DWORD src1_sel:BYTE_1
	v_lshrrev_b16_e32 v56, 2, v0
	v_lshrrev_b16_e32 v28, 2, v1
	v_mul_lo_u16_e32 v0, 7, v56
	v_mul_lo_u16_e32 v1, 7, v28
	v_sub_u16_e32 v0, v112, v0
	v_sub_u16_e32 v1, v113, v1
	v_and_b32_e32 v58, 0xff, v0
	v_and_b32_e32 v31, 0xff, v1
	v_mov_b32_e32 v241, v112
	v_mul_u32_u24_e32 v0, 6, v58
	v_mul_u32_u24_e32 v1, 6, v31
	s_waitcnt lgkmcnt(0)
	; wave barrier
	s_waitcnt lgkmcnt(0)
	buffer_store_dword v241, off, s[24:27], 0 offset:4 ; 4-byte Folded Spill
	v_lshlrev_b32_e32 v0, 3, v0
	v_lshlrev_b32_e32 v1, 3, v1
	v_accvgpr_write_b32 a201, v98
	global_load_dwordx4 v[98:101], v0, s[10:11] offset:16
	global_load_dwordx4 v[144:147], v0, s[10:11]
	global_load_dwordx4 v[148:151], v1, s[10:11]
	global_load_dwordx4 v[160:163], v0, s[10:11] offset:32
	global_load_dwordx4 v[140:143], v1, s[10:11] offset:16
	;; [unrolled: 1-line block ×3, first 2 shown]
	v_mul_lo_u16_sdwa v0, v103, v8 dst_sel:DWORD dst_unused:UNUSED_PAD src0_sel:BYTE_0 src1_sel:DWORD
	v_sub_u16_sdwa v1, v103, v0 dst_sel:DWORD dst_unused:UNUSED_PAD src0_sel:DWORD src1_sel:BYTE_1
	v_lshrrev_b16_e32 v1, 1, v1
	v_and_b32_e32 v1, 0x7f, v1
	v_add_u16_sdwa v0, v1, v0 dst_sel:DWORD dst_unused:UNUSED_PAD src0_sel:DWORD src1_sel:BYTE_1
	v_lshrrev_b16_e32 v19, 2, v0
	v_mul_lo_u16_e32 v0, 7, v19
	v_sub_u16_e32 v0, v103, v0
	v_mul_lo_u16_sdwa v5, v102, v8 dst_sel:DWORD dst_unused:UNUSED_PAD src0_sel:BYTE_0 src1_sel:DWORD
	v_and_b32_e32 v25, 0xff, v0
	v_sub_u16_sdwa v6, v102, v5 dst_sel:DWORD dst_unused:UNUSED_PAD src0_sel:DWORD src1_sel:BYTE_1
	v_mul_u32_u24_e32 v0, 6, v25
	v_lshrrev_b16_e32 v6, 1, v6
	v_lshlrev_b32_e32 v4, 3, v0
	v_and_b32_e32 v6, 0x7f, v6
	v_accvgpr_write_b32 a138, v113
	global_load_dwordx4 v[48:51], v4, s[10:11]
	global_load_dwordx4 v[110:113], v4, s[10:11] offset:16
	global_load_dwordx4 v[52:55], v4, s[10:11] offset:32
	v_add_u16_sdwa v4, v6, v5 dst_sel:DWORD dst_unused:UNUSED_PAD src0_sel:DWORD src1_sel:BYTE_1
	v_lshrrev_b16_e32 v18, 2, v4
	v_mul_lo_u16_e32 v4, 7, v18
	v_sub_u16_e32 v4, v102, v4
	v_and_b32_e32 v24, 0xff, v4
	v_mul_u32_u24_e32 v4, 6, v24
	v_lshlrev_b32_e32 v9, 3, v4
	v_mul_lo_u16_sdwa v8, v230, v8 dst_sel:DWORD dst_unused:UNUSED_PAD src0_sel:BYTE_0 src1_sel:DWORD
	ds_read2_b64 v[0:3], v120 offset0:174 offset1:223
	global_load_dwordx4 v[152:155], v9, s[10:11]
	ds_read2_b64 v[4:7], v246 offset0:92 offset1:141
	global_load_dwordx4 v[156:159], v9, s[10:11] offset:16
	global_load_dwordx4 v[60:63], v9, s[10:11] offset:32
	v_sub_u16_sdwa v9, v230, v8 dst_sel:DWORD dst_unused:UNUSED_PAD src0_sel:DWORD src1_sel:BYTE_1
	v_lshrrev_b16_e32 v9, 1, v9
	v_and_b32_e32 v9, 0x7f, v9
	v_add_u16_sdwa v8, v9, v8 dst_sel:DWORD dst_unused:UNUSED_PAD src0_sel:DWORD src1_sel:BYTE_1
	v_lshrrev_b16_e32 v16, 2, v8
	v_mul_lo_u16_e32 v8, 7, v16
	v_sub_u16_e32 v8, v230, v8
	v_and_b32_e32 v17, 0xff, v8
	v_mul_u32_u24_e32 v8, 6, v17
	v_lshlrev_b32_e32 v29, 3, v8
	global_load_dwordx4 v[132:135], v29, s[10:11] offset:16
	global_load_dwordx4 v[164:167], v29, s[10:11]
	ds_read2_b64 v[8:11], v114 offset0:10 offset1:59
	ds_read2_b64 v[12:15], v122 offset0:136 offset1:185
	;; [unrolled: 1-line block ×9, first 2 shown]
	s_movk_i32 s8, 0x2493
	global_load_dwordx4 v[184:187], v29, s[10:11] offset:32
	v_mov_b32_e32 v249, v116
	v_mov_b32_e32 v248, v115
	v_mov_b32_e32 v243, v117
	v_mov_b32_e32 v245, v118
	v_mov_b32_e32 v247, v119
	v_mov_b32_e32 v250, v114
	v_mov_b32_e32 v252, v121
	v_mov_b32_e32 v251, v120
	v_mov_b32_e32 v253, v122
	ds_read2_b64 v[224:227], v246 offset0:190 offset1:239
	v_mul_u32_u24_e32 v56, 49, v56
	v_accvgpr_write_b32 a139, v252
	v_accvgpr_write_b32 a143, v245
	;; [unrolled: 1-line block ×10, first 2 shown]
	s_mov_b32 s18, 0x3f955555
	s_load_dwordx2 s[4:5], s[4:5], 0x38
	s_waitcnt vmcnt(12) lgkmcnt(0)
	v_mul_f32_e32 v77, v2, v151
	v_mul_f32_e32 v91, v4, v101
	;; [unrolled: 1-line block ×3, first 2 shown]
	v_fma_f32 v88, v0, v146, -v26
	v_mul_f32_e32 v89, v0, v147
	v_mul_f32_e32 v0, v5, v101
	v_fma_f32 v90, v4, v100, -v0
	v_mul_f32_e32 v0, v3, v151
	v_fma_f32 v76, v2, v150, -v0
	s_waitcnt vmcnt(11)
	v_mul_f32_e32 v0, v9, v163
	v_fmac_f32_e32 v77, v3, v150
	v_fmac_f32_e32 v91, v5, v100
	v_fma_f32 v92, v8, v162, -v0
	s_waitcnt vmcnt(10)
	v_mul_f32_e32 v0, v7, v143
	s_waitcnt vmcnt(9)
	v_pk_mov_b32 v[2:3], v[64:65], v[64:65] op_sel:[0,1]
	v_fma_f32 v78, v6, v142, -v0
	v_mul_f32_e32 v0, v13, v149
	v_pk_mov_b32 v[4:5], v[66:67], v[66:67] op_sel:[0,1]
	v_fma_f32 v80, v12, v148, -v0
	v_mul_f32_e32 v0, v11, v5
	v_fma_f32 v81, v10, v4, -v0
	v_mul_f32_e32 v0, v21, v141
	v_fma_f32 v84, v20, v140, -v0
	s_waitcnt vmcnt(8)
	v_mul_f32_e32 v0, v15, v49
	v_fma_f32 v66, v14, v48, -v0
	v_mul_f32_e32 v0, v33, v3
	v_fma_f32 v86, v32, v2, -v0
	s_waitcnt vmcnt(7)
	;; [unrolled: 5-line block ×3, first 2 shown]
	v_mul_f32_e32 v0, v35, v53
	v_fma_f32 v71, v34, v52, -v0
	v_mul_f32_e32 v0, v41, v55
	v_mul_f32_e32 v73, v36, v51
	v_accvgpr_write_b32 a111, v51
	v_fma_f32 v74, v40, v54, -v0
	s_waitcnt vmcnt(5)
	v_mul_f32_e32 v0, v39, v155
	v_mul_f32_e32 v72, v34, v53
	v_fmac_f32_e32 v73, v37, v50
	v_accvgpr_write_b32 a110, v50
	v_accvgpr_write_b32 a109, v49
	;; [unrolled: 1-line block ×3, first 2 shown]
	v_fma_f32 v50, v38, v154, -v0
	v_accvgpr_write_b32 a107, v55
	v_mul_f32_e32 v0, v45, v153
	v_fmac_f32_e32 v72, v35, v52
	v_mul_f32_e32 v75, v40, v55
	v_accvgpr_write_b32 a106, v54
	v_accvgpr_write_b32 a105, v53
	;; [unrolled: 1-line block ×3, first 2 shown]
	v_fma_f32 v52, v44, v152, -v0
	s_waitcnt vmcnt(3)
	v_mul_f32_e32 v0, v43, v63
	v_fmac_f32_e32 v75, v41, v54
	v_fma_f32 v54, v42, v62, -v0
	v_mul_f32_e32 v0, v95, v157
	v_fma_f32 v53, v94, v156, -v0
	s_waitcnt vmcnt(1)
	v_mul_f32_e32 v0, v47, v165
	v_mul_f32_e32 v51, v38, v155
	v_fma_f32 v38, v46, v164, -v0
	v_mul_f32_e32 v0, v105, v167
	v_mul_f32_e32 v55, v42, v63
	v_fma_f32 v42, v104, v166, -v0
	v_mul_f32_e32 v0, v97, v133
	v_fmac_f32_e32 v55, v43, v62
	v_fma_f32 v43, v96, v132, -v0
	v_mul_u32_u24_sdwa v0, v229, s8 dst_sel:DWORD dst_unused:UNUSED_PAD src0_sel:WORD_0 src1_sel:DWORD
	v_fmac_f32_e32 v89, v1, v146
	v_sub_u16_sdwa v1, v229, v0 dst_sel:DWORD dst_unused:UNUSED_PAD src0_sel:DWORD src1_sel:WORD_1
	v_lshrrev_b16_e32 v1, 1, v1
	v_add_u16_sdwa v0, v1, v0 dst_sel:DWORD dst_unused:UNUSED_PAD src0_sel:DWORD src1_sel:WORD_1
	v_lshrrev_b16_e32 v26, 2, v0
	v_mul_lo_u16_e32 v0, 7, v26
	v_sub_u16_e32 v27, v229, v0
	v_mul_f32_e32 v82, v10, v5
	v_accvgpr_write_b32 a175, v5
	v_mul_lo_u16_e32 v0, 6, v27
	v_fmac_f32_e32 v82, v11, v4
	v_accvgpr_write_b32 a174, v4
	v_accvgpr_write_b32 a173, v3
	;; [unrolled: 1-line block ×3, first 2 shown]
	v_lshlrev_b32_e32 v4, 3, v0
	global_load_dwordx4 v[180:183], v4, s[10:11] offset:32
	global_load_dwordx4 v[168:171], v4, s[10:11]
	global_load_dwordx4 v[188:191], v4, s[10:11] offset:16
	v_mul_f32_e32 v87, v32, v3
	v_fmac_f32_e32 v87, v33, v2
	v_pk_mov_b32 v[138:139], v[62:63], v[62:63] op_sel:[0,1]
	v_pk_mov_b32 v[136:137], v[60:61], v[60:61] op_sel:[0,1]
	v_mul_f32_e32 v79, v6, v143
	v_mul_f32_e32 v67, v14, v49
	;; [unrolled: 1-line block ×3, first 2 shown]
	v_fmac_f32_e32 v51, v39, v154
	v_fmac_f32_e32 v57, v45, v152
	v_mul_f32_e32 v39, v46, v165
	v_fmac_f32_e32 v67, v15, v48
	v_mul_f32_e32 v93, v8, v163
	v_mul_f32_e32 v85, v20, v141
	;; [unrolled: 1-line block ×3, first 2 shown]
	v_fmac_f32_e32 v85, v21, v140
	v_fmac_f32_e32 v69, v23, v110
	ds_read2_b64 v[20:23], v242 offset0:130 offset1:179
	v_mul_f32_e32 v83, v12, v149
	v_accvgpr_write_b32 a179, v101
	v_fmac_f32_e32 v83, v13, v148
	v_accvgpr_write_b32 a178, v100
	v_accvgpr_write_b32 a177, v99
	;; [unrolled: 1-line block ×3, first 2 shown]
	v_fmac_f32_e32 v79, v7, v142
	v_add_f32_e32 v100, v84, v78
	v_add_f32_e32 v119, v85, v79
	s_waitcnt lgkmcnt(0)
	v_mul_f32_e32 v123, v22, v161
	v_fmac_f32_e32 v39, v47, v164
	v_mul_f32_e32 v44, v96, v133
	v_mul_f32_e32 v47, v104, v167
	v_fmac_f32_e32 v93, v9, v162
	v_fmac_f32_e32 v44, v97, v132
	;; [unrolled: 1-line block ×4, first 2 shown]
	v_mul_f32_e32 v61, v94, v157
	v_fmac_f32_e32 v61, v95, v156
	v_mul_f32_e32 v63, v224, v113
	v_mul_f32_e32 v65, v226, v159
	v_fmac_f32_e32 v63, v225, v112
	v_fmac_f32_e32 v65, v227, v158
	v_add_f32_e32 v130, v89, v123
	v_add_f32_e32 v231, v67, v75
	;; [unrolled: 1-line block ×5, first 2 shown]
	v_sub_f32_e32 v89, v89, v123
	v_add_f32_e32 v239, v61, v65
	s_waitcnt vmcnt(1)
	v_mul_f32_e32 v0, v107, v171
	v_fma_f32 v34, v106, v170, -v0
	ds_read2_b64 v[0:3], v114 offset0:206 offset1:255
	v_mul_f32_e32 v35, v106, v171
	v_fmac_f32_e32 v35, v107, v170
	s_waitcnt lgkmcnt(0)
	v_mul_f32_e32 v5, v1, v187
	v_fma_f32 v59, v0, v186, -v5
	v_mul_f32_e32 v60, v0, v187
	v_mul_f32_e32 v0, v3, v183
	v_fma_f32 v40, v2, v182, -v0
	v_mul_u32_u24_sdwa v0, v228, s8 dst_sel:DWORD dst_unused:UNUSED_PAD src0_sel:WORD_0 src1_sel:DWORD
	v_fmac_f32_e32 v60, v1, v186
	v_sub_u16_sdwa v1, v228, v0 dst_sel:DWORD dst_unused:UNUSED_PAD src0_sel:DWORD src1_sel:WORD_1
	v_mul_f32_e32 v41, v2, v183
	v_lshrrev_b16_e32 v1, 1, v1
	v_fmac_f32_e32 v41, v3, v182
	v_add_u16_sdwa v5, v1, v0 dst_sel:DWORD dst_unused:UNUSED_PAD src0_sel:DWORD src1_sel:WORD_1
	ds_read2_b64 v[0:3], v120 offset0:76 offset1:125
	v_lshrrev_b16_e32 v14, 2, v5
	v_add_f32_e32 v214, v38, v59
	v_add_f32_e32 v221, v39, v60
	s_movk_i32 s8, 0x4f
	s_waitcnt lgkmcnt(0)
	v_mul_f32_e32 v6, v1, v169
	v_fma_f32 v45, v0, v168, -v6
	v_mul_f32_e32 v46, v0, v169
	v_mul_lo_u16_e32 v0, 7, v14
	v_sub_u16_e32 v15, v228, v0
	v_mul_lo_u16_e32 v0, 6, v15
	v_lshlrev_b32_e32 v8, 3, v0
	global_load_dwordx4 v[176:179], v8, s[10:11]
	global_load_dwordx4 v[172:175], v8, s[10:11] offset:16
	global_load_dwordx4 v[196:199], v8, s[10:11] offset:32
	v_fmac_f32_e32 v46, v1, v168
	v_add_f32_e32 v206, v45, v40
	v_add_f32_e32 v209, v46, v41
	s_waitcnt vmcnt(2)
	v_mul_f32_e32 v0, v3, v177
	v_mul_f32_e32 v30, v2, v177
	v_fma_f32 v29, v2, v176, -v0
	v_fmac_f32_e32 v30, v3, v176
	ds_read2_b64 v[0:3], v117 offset0:84 offset1:133
	v_add_f32_e32 v117, v83, v82
	s_waitcnt lgkmcnt(0)
	v_mul_f32_e32 v5, v3, v99
	v_fma_f32 v115, v2, v98, -v5
	v_mul_f32_e32 v116, v2, v99
	v_mul_f32_e32 v2, v1, v179
	;; [unrolled: 1-line block ×3, first 2 shown]
	v_fmac_f32_e32 v116, v3, v98
	v_fma_f32 v32, v0, v178, -v2
	v_fmac_f32_e32 v33, v1, v178
	ds_read2_b64 v[0:3], v118 offset0:122 offset1:171
	v_add_f32_e32 v98, v80, v81
	v_add_f32_e32 v99, v76, v86
	;; [unrolled: 1-line block ×4, first 2 shown]
	s_waitcnt lgkmcnt(0)
	v_mul_f32_e32 v4, v1, v189
	v_fma_f32 v48, v0, v188, -v4
	v_mul_f32_e32 v49, v0, v189
	s_waitcnt vmcnt(1)
	v_mul_f32_e32 v0, v3, v173
	v_mul_f32_e32 v37, v2, v173
	v_fmac_f32_e32 v49, v1, v188
	v_fma_f32 v36, v2, v172, -v0
	v_fmac_f32_e32 v37, v3, v172
	ds_read2_b64 v[0:3], v122 offset0:38 offset1:87
	v_add_f32_e32 v101, v100, v6
	v_add_f32_e32 v6, v118, v117
	;; [unrolled: 1-line block ×3, first 2 shown]
	v_mul_f32_e32 v6, v21, v175
	s_waitcnt lgkmcnt(0)
	v_mul_f32_e32 v4, v3, v145
	v_fma_f32 v120, v2, v144, -v4
	v_mul_f32_e32 v121, v2, v145
	v_mul_f32_e32 v2, v23, v161
	v_fma_f32 v122, v22, v160, -v2
	v_fma_f32 v22, v20, v174, -v6
	ds_read_b64 v[6:7], v193 offset:18816
	v_mul_f32_e32 v23, v20, v175
	v_fmac_f32_e32 v23, v21, v174
	v_add_f32_e32 v21, v36, v22
	v_add_f32_e32 v95, v37, v23
	s_waitcnt vmcnt(0) lgkmcnt(0)
	v_mul_f32_e32 v8, v7, v199
	v_mul_f32_e32 v104, v6, v199
	v_fma_f32 v97, v6, v198, -v8
	v_fmac_f32_e32 v104, v7, v198
	ds_read2_b64 v[6:9], v244 offset0:168 offset1:217
	v_add_f32_e32 v20, v29, v97
	v_add_f32_e32 v94, v30, v104
	v_fmac_f32_e32 v121, v3, v144
	v_add_f32_e32 v124, v120, v92
	s_waitcnt lgkmcnt(0)
	v_mul_f32_e32 v10, v9, v197
	v_fma_f32 v105, v8, v196, -v10
	v_mul_f32_e32 v106, v8, v197
	v_fmac_f32_e32 v106, v9, v196
	v_add_f32_e32 v96, v32, v105
	v_add_f32_e32 v8, v96, v20
	;; [unrolled: 1-line block ×6, first 2 shown]
	v_mul_f32_e32 v8, v7, v181
	v_mul_f32_e32 v201, v6, v181
	v_fma_f32 v200, v6, v180, -v8
	v_fmac_f32_e32 v201, v7, v180
	ds_read2_b64 v[6:9], v242 offset0:32 offset1:81
	v_add_f32_e32 v207, v34, v200
	v_add_f32_e32 v210, v35, v201
	;; [unrolled: 1-line block ×4, first 2 shown]
	s_waitcnt lgkmcnt(0)
	v_mul_f32_e32 v10, v9, v191
	v_fma_f32 v202, v8, v190, -v10
	v_mul_f32_e32 v203, v8, v191
	v_mul_f32_e32 v8, v7, v135
	v_fmac_f32_e32 v203, v9, v190
	v_fma_f32 v212, v6, v134, -v8
	ds_read2_b64 v[8:11], v193 offset0:196 offset1:245
	v_mul_f32_e32 v213, v6, v135
	v_add_f32_e32 v208, v48, v202
	v_add_f32_e32 v6, v207, v206
	;; [unrolled: 1-line block ×6, first 2 shown]
	v_fmac_f32_e32 v213, v7, v134
	s_waitcnt lgkmcnt(0)
	v_add_f32_e32 v6, v204, v10
	v_add_f32_e32 v7, v205, v11
	ds_read2_b64 v[10:13], v244 offset0:70 offset1:119
	v_add_f32_e32 v218, v43, v212
	v_add_f32_e32 v223, v44, v213
	;; [unrolled: 1-line block ×4, first 2 shown]
	s_waitcnt lgkmcnt(0)
	v_mul_f32_e32 v62, v13, v185
	v_fma_f32 v216, v12, v184, -v62
	v_mul_f32_e32 v217, v12, v185
	v_fmac_f32_e32 v217, v13, v184
	v_add_f32_e32 v215, v42, v216
	v_add_f32_e32 v12, v215, v214
	;; [unrolled: 1-line block ×6, first 2 shown]
	v_mul_f32_e32 v12, v225, v113
	v_fma_f32 v62, v224, v112, -v12
	v_mul_f32_e32 v12, v227, v159
	v_fma_f32 v64, v226, v158, -v12
	v_pk_mov_b32 v[226:227], v[138:139], v[138:139] op_sel:[0,1]
	v_pk_mov_b32 v[224:225], v[136:137], v[136:137] op_sel:[0,1]
	v_mul_f32_e32 v12, v11, v225
	v_mul_f32_e32 v137, v10, v225
	v_accvgpr_write_b32 a188, v224
	v_add_f32_e32 v127, v126, v2
	v_add_f32_e32 v131, v116, v91
	;; [unrolled: 1-line block ×3, first 2 shown]
	v_fma_f32 v136, v10, v224, -v12
	v_fmac_f32_e32 v137, v11, v224
	v_accvgpr_write_b32 a189, v225
	v_accvgpr_write_b32 a190, v226
	;; [unrolled: 1-line block ×3, first 2 shown]
	ds_read2_b64 v[224:227], v193 offset0:98 offset1:147
	v_add_f32_e32 v128, v131, v2
	ds_read2_b64 v[2:5], v193 offset1:49
	v_add_f32_e32 v138, v66, v74
	v_add_f32_e32 v139, v70, v71
	;; [unrolled: 1-line block ×7, first 2 shown]
	s_waitcnt lgkmcnt(1)
	v_add_f32_e32 v12, v195, v224
	v_add_f32_e32 v13, v234, v225
	;; [unrolled: 1-line block ×4, first 2 shown]
	v_sub_f32_e32 v88, v88, v122
	v_sub_f32_e32 v90, v90, v115
	s_waitcnt lgkmcnt(0)
	v_add_f32_e32 v2, v127, v2
	v_add_f32_e32 v235, v53, v64
	;; [unrolled: 1-line block ×4, first 2 shown]
	v_sub_f32_e32 v92, v120, v92
	v_sub_f32_e32 v91, v91, v116
	;; [unrolled: 1-line block ×4, first 2 shown]
	v_add_f32_e32 v124, v90, v88
	v_add_f32_e32 v3, v128, v3
	;; [unrolled: 1-line block ×4, first 2 shown]
	v_sub_f32_e32 v93, v121, v93
	v_sub_f32_e32 v120, v126, v125
	;; [unrolled: 1-line block ×8, first 2 shown]
	v_add_f32_e32 v92, v124, v92
	v_sub_f32_e32 v124, v91, v89
	v_mov_b32_e32 v130, v2
	v_add_f32_e32 v240, v239, v10
	v_add_f32_e32 v10, v236, v226
	;; [unrolled: 1-line block ×3, first 2 shown]
	v_sub_f32_e32 v91, v93, v91
	v_sub_f32_e32 v129, v89, v93
	v_fmac_f32_e32 v130, 0xbf955555, v127
	v_mov_b32_e32 v127, v3
	v_add_lshl_u32 v226, v56, v58, 3
	v_mul_f32_e32 v56, 0x3f4a47b2, v116
	v_mul_f32_e32 v58, 0x3f4a47b2, v122
	;; [unrolled: 1-line block ×4, first 2 shown]
	v_add_f32_e32 v93, v88, v93
	v_fmac_f32_e32 v127, 0xbf955555, v128
	v_fma_f32 v124, v115, s7, -v56
	v_fmac_f32_e32 v56, 0x3d64c772, v120
	v_fma_f32 v125, v121, s7, -v58
	;; [unrolled: 2-line block ×4, first 2 shown]
	v_fmac_f32_e32 v122, 0x3eae86e6, v91
	v_add_f32_e32 v56, v56, v130
	v_add_f32_e32 v58, v58, v127
	v_fmac_f32_e32 v116, 0x3ee1c552, v92
	v_fmac_f32_e32 v122, 0x3ee1c552, v93
	v_add_f32_e32 v88, v122, v56
	v_sub_f32_e32 v89, v58, v116
	s_waitcnt lgkmcnt(0)
	; wave barrier
	ds_write2_b64 v226, v[2:3], v[88:89] offset1:7
	v_mul_f32_e32 v2, 0x3d64c772, v120
	v_fma_f32 v2, v115, s6, -v2
	v_mul_f32_e32 v115, 0xbf5ff5aa, v126
	v_mul_f32_e32 v3, 0x3d64c772, v123
	v_fmac_f32_e32 v115, 0xbeae86e6, v90
	v_mul_f32_e32 v90, 0xbf5ff5aa, v129
	v_fma_f32 v3, v121, s6, -v3
	v_fmac_f32_e32 v90, 0xbeae86e6, v91
	v_add_f32_e32 v91, v2, v130
	v_add_f32_e32 v120, v124, v130
	;; [unrolled: 1-line block ×4, first 2 shown]
	v_fmac_f32_e32 v128, 0x3ee1c552, v92
	v_fmac_f32_e32 v115, 0x3ee1c552, v92
	;; [unrolled: 1-line block ×4, first 2 shown]
	v_add_f32_e32 v2, v90, v120
	v_sub_f32_e32 v3, v123, v115
	v_sub_f32_e32 v88, v91, v131
	v_add_f32_e32 v89, v128, v121
	ds_write2_b64 v226, v[2:3], v[88:89] offset0:14 offset1:21
	v_add_f32_e32 v2, v131, v91
	v_sub_f32_e32 v3, v121, v128
	v_sub_f32_e32 v88, v120, v90
	v_add_f32_e32 v89, v115, v123
	ds_write2_b64 v226, v[2:3], v[88:89] offset0:28 offset1:35
	v_sub_f32_e32 v2, v56, v122
	v_add_f32_e32 v3, v116, v58
	v_sub_f32_e32 v56, v76, v86
	v_sub_f32_e32 v76, v78, v84
	ds_write_b64 v226, v[2:3] offset:336
	v_sub_f32_e32 v2, v80, v81
	v_sub_f32_e32 v58, v77, v87
	v_sub_f32_e32 v77, v79, v85
	v_add_f32_e32 v84, v76, v56
	v_sub_f32_e32 v3, v83, v82
	v_sub_f32_e32 v85, v76, v56
	;; [unrolled: 1-line block ×4, first 2 shown]
	v_add_f32_e32 v84, v84, v2
	v_add_f32_e32 v2, v77, v58
	v_add_f32_e32 v4, v101, v4
	v_add_f32_e32 v5, v114, v5
	v_sub_f32_e32 v79, v98, v100
	v_sub_f32_e32 v82, v117, v119
	;; [unrolled: 1-line block ×3, first 2 shown]
	v_add_f32_e32 v87, v2, v3
	v_mul_u32_u24_e32 v2, 49, v28
	v_sub_f32_e32 v78, v99, v98
	v_sub_f32_e32 v80, v100, v99
	;; [unrolled: 1-line block ×6, first 2 shown]
	v_mov_b32_e32 v88, v4
	v_mov_b32_e32 v89, v5
	v_add_lshl_u32 v92, v2, v31, 3
	v_mul_f32_e32 v2, 0x3f4a47b2, v79
	v_mul_f32_e32 v3, 0x3f4a47b2, v82
	;; [unrolled: 1-line block ×4, first 2 shown]
	v_fmac_f32_e32 v88, 0xbf955555, v101
	v_fmac_f32_e32 v89, 0xbf955555, v114
	v_fma_f32 v79, v78, s7, -v2
	v_fmac_f32_e32 v2, 0x3d64c772, v80
	v_fma_f32 v82, v81, s7, -v3
	v_fmac_f32_e32 v3, 0x3d64c772, v83
	v_fma_f32 v85, v56, s9, -v28
	v_fmac_f32_e32 v28, 0x3eae86e6, v76
	v_fma_f32 v86, v58, s9, -v31
	v_fmac_f32_e32 v31, 0x3eae86e6, v77
	v_add_f32_e32 v90, v2, v88
	v_add_f32_e32 v91, v3, v89
	v_fmac_f32_e32 v28, 0x3ee1c552, v84
	v_fmac_f32_e32 v31, 0x3ee1c552, v87
	v_add_f32_e32 v2, v31, v90
	v_sub_f32_e32 v3, v91, v28
	ds_write2_b64 v92, v[4:5], v[2:3] offset1:7
	v_mul_f32_e32 v2, 0x3d64c772, v80
	v_mul_f32_e32 v3, 0x3d64c772, v83
	;; [unrolled: 1-line block ×4, first 2 shown]
	v_fma_f32 v2, v78, s6, -v2
	v_fma_f32 v3, v81, s6, -v3
	v_fmac_f32_e32 v56, 0xbeae86e6, v76
	v_fmac_f32_e32 v58, 0xbeae86e6, v77
	v_add_f32_e32 v76, v2, v88
	v_add_f32_e32 v77, v79, v88
	;; [unrolled: 1-line block ×4, first 2 shown]
	v_fmac_f32_e32 v85, 0x3ee1c552, v84
	v_fmac_f32_e32 v56, 0x3ee1c552, v84
	;; [unrolled: 1-line block ×4, first 2 shown]
	v_add_f32_e32 v2, v58, v77
	v_sub_f32_e32 v3, v79, v56
	v_sub_f32_e32 v4, v76, v86
	v_add_f32_e32 v5, v85, v78
	ds_write2_b64 v92, v[2:3], v[4:5] offset0:14 offset1:21
	v_add_f32_e32 v2, v86, v76
	v_sub_f32_e32 v3, v78, v85
	v_sub_f32_e32 v4, v77, v58
	v_add_f32_e32 v5, v56, v79
	ds_write2_b64 v92, v[2:3], v[4:5] offset0:28 offset1:35
	v_sub_f32_e32 v2, v90, v31
	v_add_f32_e32 v3, v28, v91
	v_sub_f32_e32 v4, v70, v71
	v_sub_f32_e32 v28, v62, v68
	ds_write_b64 v92, v[2:3] offset:336
	v_sub_f32_e32 v2, v66, v74
	v_sub_f32_e32 v5, v73, v72
	;; [unrolled: 1-line block ×3, first 2 shown]
	v_add_f32_e32 v68, v28, v4
	v_sub_f32_e32 v3, v67, v75
	v_sub_f32_e32 v69, v28, v4
	;; [unrolled: 1-line block ×4, first 2 shown]
	v_add_f32_e32 v68, v68, v2
	v_add_f32_e32 v2, v31, v5
	v_sub_f32_e32 v58, v138, v194
	v_sub_f32_e32 v66, v231, v233
	;; [unrolled: 1-line block ×3, first 2 shown]
	v_add_f32_e32 v71, v2, v3
	v_mul_u32_u24_e32 v2, 49, v19
	v_sub_f32_e32 v56, v139, v138
	v_sub_f32_e32 v62, v194, v139
	;; [unrolled: 1-line block ×6, first 2 shown]
	v_mov_b32_e32 v72, v12
	v_mov_b32_e32 v73, v13
	v_add_lshl_u32 v76, v2, v25, 3
	v_mul_f32_e32 v2, 0x3f4a47b2, v58
	v_mul_f32_e32 v3, 0x3f4a47b2, v66
	;; [unrolled: 1-line block ×4, first 2 shown]
	v_fmac_f32_e32 v72, 0xbf955555, v195
	v_fmac_f32_e32 v73, 0xbf955555, v234
	v_fma_f32 v58, v56, s7, -v2
	v_fmac_f32_e32 v2, 0x3d64c772, v62
	v_fma_f32 v66, v63, s7, -v3
	;; [unrolled: 2-line block ×4, first 2 shown]
	v_fmac_f32_e32 v25, 0x3eae86e6, v31
	v_add_f32_e32 v74, v2, v72
	v_add_f32_e32 v75, v3, v73
	v_fmac_f32_e32 v19, 0x3ee1c552, v68
	v_fmac_f32_e32 v25, 0x3ee1c552, v71
	v_add_f32_e32 v2, v25, v74
	v_sub_f32_e32 v3, v75, v19
	ds_write2_b64 v76, v[12:13], v[2:3] offset1:7
	v_mul_f32_e32 v2, 0x3d64c772, v62
	v_mul_f32_e32 v3, 0x3d64c772, v67
	;; [unrolled: 1-line block ×4, first 2 shown]
	v_fma_f32 v2, v56, s6, -v2
	v_fma_f32 v3, v63, s6, -v3
	v_fmac_f32_e32 v12, 0xbeae86e6, v28
	v_fmac_f32_e32 v13, 0xbeae86e6, v31
	v_add_f32_e32 v28, v2, v72
	v_add_f32_e32 v31, v58, v72
	;; [unrolled: 1-line block ×4, first 2 shown]
	v_fmac_f32_e32 v69, 0x3ee1c552, v68
	v_fmac_f32_e32 v12, 0x3ee1c552, v68
	;; [unrolled: 1-line block ×4, first 2 shown]
	v_add_f32_e32 v2, v13, v31
	v_sub_f32_e32 v3, v58, v12
	v_sub_f32_e32 v4, v28, v70
	v_add_f32_e32 v5, v69, v56
	ds_write2_b64 v76, v[2:3], v[4:5] offset0:14 offset1:21
	v_add_f32_e32 v2, v70, v28
	v_sub_f32_e32 v3, v56, v69
	v_sub_f32_e32 v4, v31, v13
	v_add_f32_e32 v5, v12, v58
	ds_write2_b64 v76, v[2:3], v[4:5] offset0:28 offset1:35
	v_mul_u32_u24_e32 v4, 49, v18
	v_sub_f32_e32 v2, v74, v25
	v_add_f32_e32 v3, v19, v75
	v_add_lshl_u32 v62, v4, v24, 3
	v_sub_f32_e32 v4, v50, v136
	v_sub_f32_e32 v12, v64, v53
	ds_write_b64 v76, v[2:3] offset:336
	v_sub_f32_e32 v2, v52, v54
	v_sub_f32_e32 v5, v51, v137
	;; [unrolled: 1-line block ×3, first 2 shown]
	v_add_f32_e32 v50, v12, v4
	v_add_f32_e32 v11, v240, v227
	v_sub_f32_e32 v3, v57, v55
	v_sub_f32_e32 v19, v224, v235
	;; [unrolled: 1-line block ×6, first 2 shown]
	v_add_f32_e32 v50, v50, v2
	v_add_f32_e32 v2, v13, v5
	v_sub_f32_e32 v52, v13, v5
	v_sub_f32_e32 v18, v225, v224
	;; [unrolled: 1-line block ×7, first 2 shown]
	v_add_f32_e32 v53, v2, v3
	v_mov_b32_e32 v54, v10
	v_mov_b32_e32 v55, v11
	v_mul_f32_e32 v2, 0x3f4a47b2, v19
	v_mul_f32_e32 v3, 0x3f4a47b2, v28
	;; [unrolled: 1-line block ×4, first 2 shown]
	v_fmac_f32_e32 v54, 0xbf955555, v236
	v_fmac_f32_e32 v55, 0xbf955555, v240
	v_fma_f32 v51, v18, s7, -v2
	v_fmac_f32_e32 v2, 0x3d64c772, v24
	v_fma_f32 v52, v25, s7, -v3
	;; [unrolled: 2-line block ×4, first 2 shown]
	v_fmac_f32_e32 v28, 0x3eae86e6, v13
	v_add_f32_e32 v58, v2, v54
	v_add_f32_e32 v61, v3, v55
	v_fmac_f32_e32 v19, 0x3ee1c552, v50
	v_fmac_f32_e32 v28, 0x3ee1c552, v53
	v_add_f32_e32 v2, v28, v58
	v_sub_f32_e32 v3, v61, v19
	ds_write2_b64 v62, v[10:11], v[2:3] offset1:7
	v_mul_f32_e32 v2, 0x3d64c772, v24
	v_mul_f32_e32 v3, 0x3d64c772, v31
	;; [unrolled: 1-line block ×4, first 2 shown]
	v_fma_f32 v2, v18, s6, -v2
	v_fma_f32 v3, v25, s6, -v3
	v_fmac_f32_e32 v10, 0xbeae86e6, v12
	v_fmac_f32_e32 v11, 0xbeae86e6, v13
	v_add_f32_e32 v12, v2, v54
	v_add_f32_e32 v13, v51, v54
	;; [unrolled: 1-line block ×4, first 2 shown]
	v_fmac_f32_e32 v56, 0x3ee1c552, v50
	v_fmac_f32_e32 v10, 0x3ee1c552, v50
	;; [unrolled: 1-line block ×4, first 2 shown]
	v_add_f32_e32 v2, v11, v13
	v_sub_f32_e32 v3, v24, v10
	v_sub_f32_e32 v4, v12, v57
	v_add_f32_e32 v5, v56, v18
	ds_write2_b64 v62, v[2:3], v[4:5] offset0:14 offset1:21
	v_add_f32_e32 v2, v57, v12
	v_sub_f32_e32 v3, v18, v56
	v_sub_f32_e32 v4, v13, v11
	v_add_f32_e32 v5, v10, v24
	ds_write2_b64 v62, v[2:3], v[4:5] offset0:28 offset1:35
	v_mul_u32_u24_e32 v4, 49, v16
	v_sub_f32_e32 v2, v58, v28
	v_add_f32_e32 v3, v19, v61
	v_add_lshl_u32 v50, v4, v17, 3
	v_sub_f32_e32 v4, v42, v216
	v_sub_f32_e32 v10, v212, v43
	ds_write_b64 v62, v[2:3] offset:336
	v_sub_f32_e32 v2, v38, v59
	v_sub_f32_e32 v5, v47, v217
	;; [unrolled: 1-line block ×3, first 2 shown]
	v_add_f32_e32 v24, v10, v4
	v_add_f32_e32 v8, v219, v8
	;; [unrolled: 1-line block ×3, first 2 shown]
	v_sub_f32_e32 v3, v39, v60
	v_sub_f32_e32 v13, v214, v218
	;; [unrolled: 1-line block ×6, first 2 shown]
	v_add_f32_e32 v24, v24, v2
	v_add_f32_e32 v2, v11, v5
	v_sub_f32_e32 v28, v11, v5
	v_sub_f32_e32 v12, v215, v214
	;; [unrolled: 1-line block ×7, first 2 shown]
	v_add_f32_e32 v31, v2, v3
	v_mov_b32_e32 v38, v8
	v_mov_b32_e32 v39, v9
	v_mul_f32_e32 v2, 0x3f4a47b2, v13
	v_mul_f32_e32 v3, 0x3f4a47b2, v18
	;; [unrolled: 1-line block ×4, first 2 shown]
	v_fmac_f32_e32 v38, 0xbf955555, v219
	v_fmac_f32_e32 v39, 0xbf955555, v220
	v_fma_f32 v25, v12, s7, -v2
	v_fmac_f32_e32 v2, 0x3d64c772, v16
	v_fma_f32 v28, v17, s7, -v3
	;; [unrolled: 2-line block ×4, first 2 shown]
	v_fmac_f32_e32 v18, 0x3eae86e6, v11
	v_add_f32_e32 v44, v2, v38
	v_add_f32_e32 v47, v3, v39
	v_fmac_f32_e32 v13, 0x3ee1c552, v24
	v_fmac_f32_e32 v18, 0x3ee1c552, v31
	v_add_f32_e32 v2, v18, v44
	v_sub_f32_e32 v3, v47, v13
	ds_write2_b64 v50, v[8:9], v[2:3] offset1:7
	v_mul_f32_e32 v2, 0x3d64c772, v16
	v_mul_f32_e32 v3, 0x3d64c772, v19
	;; [unrolled: 1-line block ×4, first 2 shown]
	v_fma_f32 v2, v12, s6, -v2
	v_fma_f32 v3, v17, s6, -v3
	v_fmac_f32_e32 v8, 0xbeae86e6, v10
	v_fmac_f32_e32 v9, 0xbeae86e6, v11
	v_add_f32_e32 v10, v2, v38
	v_add_f32_e32 v11, v25, v38
	;; [unrolled: 1-line block ×4, first 2 shown]
	v_fmac_f32_e32 v42, 0x3ee1c552, v24
	v_fmac_f32_e32 v8, 0x3ee1c552, v24
	;; [unrolled: 1-line block ×4, first 2 shown]
	v_add_f32_e32 v2, v9, v11
	v_sub_f32_e32 v3, v16, v8
	v_sub_f32_e32 v4, v10, v43
	v_add_f32_e32 v5, v42, v12
	ds_write2_b64 v50, v[2:3], v[4:5] offset0:14 offset1:21
	v_add_f32_e32 v2, v43, v10
	v_sub_f32_e32 v3, v12, v42
	v_sub_f32_e32 v4, v11, v9
	v_add_f32_e32 v5, v8, v16
	ds_write2_b64 v50, v[2:3], v[4:5] offset0:28 offset1:35
	v_sub_f32_e32 v2, v44, v18
	v_add_f32_e32 v3, v13, v47
	v_sub_f32_e32 v5, v34, v200
	v_sub_f32_e32 v9, v202, v48
	ds_write_b64 v50, v[2:3] offset:336
	v_sub_f32_e32 v2, v45, v40
	v_sub_f32_e32 v8, v35, v201
	;; [unrolled: 1-line block ×3, first 2 shown]
	v_add_f32_e32 v19, v9, v5
	v_sub_f32_e32 v3, v46, v41
	v_sub_f32_e32 v12, v206, v208
	;; [unrolled: 1-line block ×6, first 2 shown]
	v_add_f32_e32 v19, v19, v2
	v_add_f32_e32 v2, v10, v8
	v_sub_f32_e32 v25, v10, v8
	v_mad_legacy_u16 v4, v26, 49, v27
	v_sub_f32_e32 v11, v207, v206
	v_sub_f32_e32 v13, v208, v207
	;; [unrolled: 1-line block ×6, first 2 shown]
	v_add_f32_e32 v26, v2, v3
	v_mov_b32_e32 v27, v6
	v_mov_b32_e32 v28, v7
	v_mul_f32_e32 v2, 0x3f4a47b2, v12
	v_mul_f32_e32 v3, 0x3f4a47b2, v17
	;; [unrolled: 1-line block ×4, first 2 shown]
	v_fmac_f32_e32 v27, 0xbf955555, v204
	v_fmac_f32_e32 v28, 0xbf955555, v205
	v_lshlrev_b32_e32 v39, 3, v4
	v_fma_f32 v4, v11, s7, -v2
	v_fmac_f32_e32 v2, 0x3d64c772, v13
	v_fma_f32 v12, v16, s7, -v3
	v_fmac_f32_e32 v3, 0x3d64c772, v18
	;; [unrolled: 2-line block ×4, first 2 shown]
	v_add_f32_e32 v35, v2, v27
	v_add_f32_e32 v38, v3, v28
	v_fmac_f32_e32 v24, 0x3ee1c552, v19
	v_fmac_f32_e32 v25, 0x3ee1c552, v26
	v_add_f32_e32 v2, v25, v35
	v_sub_f32_e32 v3, v38, v24
	ds_write2_b64 v39, v[6:7], v[2:3] offset1:7
	v_mov_b32_e32 v6, v39
	v_mul_f32_e32 v2, 0x3d64c772, v13
	v_mul_f32_e32 v3, 0x3d64c772, v18
	;; [unrolled: 1-line block ×4, first 2 shown]
	v_fma_f32 v2, v11, s6, -v2
	v_fma_f32 v3, v16, s6, -v3
	v_fmac_f32_e32 v39, 0xbeae86e6, v9
	v_fmac_f32_e32 v40, 0xbeae86e6, v10
	v_add_f32_e32 v18, v2, v27
	v_add_f32_e32 v27, v4, v27
	;; [unrolled: 1-line block ×4, first 2 shown]
	v_fmac_f32_e32 v31, 0x3ee1c552, v19
	v_fmac_f32_e32 v39, 0x3ee1c552, v19
	;; [unrolled: 1-line block ×4, first 2 shown]
	v_add_f32_e32 v2, v40, v27
	v_sub_f32_e32 v3, v28, v39
	v_sub_f32_e32 v4, v18, v34
	v_add_f32_e32 v5, v31, v41
	ds_write2_b64 v6, v[2:3], v[4:5] offset0:14 offset1:21
	v_sub_f32_e32 v4, v29, v97
	v_sub_f32_e32 v2, v32, v105
	;; [unrolled: 1-line block ×5, first 2 shown]
	v_add_f32_e32 v0, v108, v0
	v_mov_b32_e32 v42, v6
	v_sub_f32_e32 v5, v30, v104
	v_sub_f32_e32 v10, v96, v20
	v_add_f32_e32 v6, v8, v2
	v_sub_f32_e32 v7, v8, v2
	v_sub_f32_e32 v19, v2, v4
	v_add_f32_e32 v2, v9, v3
	;; [unrolled: 3-line block ×3, first 2 shown]
	v_mov_b32_e32 v12, v0
	v_sub_f32_e32 v16, v21, v96
	v_sub_f32_e32 v23, v3, v5
	v_add_f32_e32 v29, v2, v5
	v_mul_f32_e32 v30, 0xbf08b237, v7
	v_mul_f32_e32 v22, 0xbf08b237, v22
	v_sub_f32_e32 v21, v94, v95
	v_sub_f32_e32 v5, v5, v9
	v_mul_f32_e32 v20, 0x3f4a47b2, v20
	v_fmac_f32_e32 v12, 0xbf955555, v108
	v_mov_b32_e32 v13, v1
	v_sub_f32_e32 v11, v107, v94
	v_sub_f32_e32 v17, v95, v107
	v_add_f32_e32 v26, v6, v4
	v_mul_f32_e32 v2, 0x3d64c772, v16
	v_fma_f32 v32, v19, s9, -v30
	v_fma_f32 v33, v23, s9, -v22
	v_sub_f32_e32 v4, v4, v8
	v_mul_f32_e32 v21, 0x3f4a47b2, v21
	v_mul_f32_e32 v19, 0xbf5ff5aa, v19
	v_fma_f32 v8, v10, s7, -v20
	v_fmac_f32_e32 v20, 0x3d64c772, v16
	v_fmac_f32_e32 v22, 0x3eae86e6, v5
	;; [unrolled: 1-line block ×3, first 2 shown]
	v_fma_f32 v2, v10, s6, -v2
	v_mul_f32_e32 v3, 0x3d64c772, v17
	v_mul_f32_e32 v23, 0xbf5ff5aa, v23
	v_fma_f32 v9, v11, s7, -v21
	v_fmac_f32_e32 v19, 0xbeae86e6, v4
	v_fmac_f32_e32 v21, 0x3d64c772, v17
	;; [unrolled: 1-line block ×3, first 2 shown]
	v_add_f32_e32 v4, v20, v12
	v_fmac_f32_e32 v22, 0x3ee1c552, v29
	v_fma_f32 v3, v11, s6, -v3
	v_add_f32_e32 v6, v2, v12
	v_fmac_f32_e32 v23, 0xbeae86e6, v5
	v_add_f32_e32 v10, v8, v12
	v_add_f32_e32 v11, v9, v13
	v_fmac_f32_e32 v19, 0x3ee1c552, v26
	v_add_f32_e32 v5, v21, v13
	v_fmac_f32_e32 v30, 0x3ee1c552, v26
	v_add_f32_e32 v12, v22, v4
	v_sub_f32_e32 v16, v4, v22
	v_mad_legacy_u16 v4, v14, 49, v15
	v_add_f32_e32 v7, v3, v13
	v_fmac_f32_e32 v32, 0x3ee1c552, v26
	v_fmac_f32_e32 v33, 0x3ee1c552, v29
	;; [unrolled: 1-line block ×3, first 2 shown]
	v_sub_f32_e32 v9, v11, v19
	v_add_f32_e32 v11, v19, v11
	v_sub_f32_e32 v13, v5, v30
	v_add_f32_e32 v18, v34, v18
	v_sub_f32_e32 v19, v41, v31
	v_lshlrev_b32_e32 v4, 3, v4
	v_sub_f32_e32 v14, v27, v40
	v_add_f32_e32 v15, v39, v28
	v_mad_u64_u32 v[120:121], s[12:13], v241, 48, s[10:11]
	v_sub_f32_e32 v2, v6, v33
	v_add_f32_e32 v3, v32, v7
	v_add_f32_e32 v6, v33, v6
	v_sub_f32_e32 v7, v7, v32
	v_add_f32_e32 v8, v23, v10
	v_sub_f32_e32 v10, v10, v23
	v_add_f32_e32 v17, v30, v5
	v_sub_f32_e32 v20, v35, v25
	v_add_f32_e32 v21, v24, v38
	ds_write2_b64 v42, v[18:19], v[14:15] offset0:28 offset1:35
	ds_write_b64 v42, v[20:21] offset:336
	ds_write2_b64 v4, v[0:1], v[12:13] offset1:7
	ds_write2_b64 v4, v[8:9], v[2:3] offset0:14 offset1:21
	ds_write2_b64 v4, v[6:7], v[10:11] offset0:28 offset1:35
	ds_write_b64 v4, v[16:17] offset:336
	s_waitcnt lgkmcnt(0)
	; wave barrier
	s_waitcnt lgkmcnt(0)
	global_load_dwordx4 v[104:107], v[120:121], off offset:336
	global_load_dwordx4 v[80:83], v[120:121], off offset:368
	v_mul_lo_u16_sdwa v0, v103, s8 dst_sel:DWORD dst_unused:UNUSED_PAD src0_sel:BYTE_0 src1_sel:DWORD
	v_sub_u16_sdwa v1, v103, v0 dst_sel:DWORD dst_unused:UNUSED_PAD src0_sel:DWORD src1_sel:BYTE_1
	v_lshrrev_b16_e32 v1, 1, v1
	v_and_b32_e32 v1, 0x7f, v1
	v_add_u16_sdwa v0, v1, v0 dst_sel:DWORD dst_unused:UNUSED_PAD src0_sel:DWORD src1_sel:BYTE_1
	v_lshrrev_b16_e32 v0, 5, v0
	v_mul_lo_u16_e32 v0, 49, v0
	v_sub_u16_e32 v0, v103, v0
	v_and_b32_e32 v0, 0xff, v0
	v_mad_u64_u32 v[6:7], s[12:13], v0, 48, s[10:11]
	global_load_dwordx4 v[10:13], v[6:7], off offset:336
	global_load_dwordx4 v[124:127], v[120:121], off offset:352
	v_accvgpr_write_b32 a146, v0
	ds_read2_b64 v[0:3], v251 offset0:174 offset1:223
	v_accvgpr_write_b32 a202, v50
	v_accvgpr_write_b32 a205, v76
	;; [unrolled: 1-line block ×3, first 2 shown]
	v_mov_b32_e32 v5, v253
	v_accvgpr_write_b32 a210, v92
	v_accvgpr_write_b32 a204, v42
	;; [unrolled: 1-line block ×5, first 2 shown]
	s_waitcnt vmcnt(3) lgkmcnt(0)
	v_mul_f32_e32 v8, v1, v107
	v_fma_f32 v87, v0, v106, -v8
	v_mul_f32_e32 v96, v0, v107
	v_mul_f32_e32 v0, v3, v107
	;; [unrolled: 1-line block ×3, first 2 shown]
	v_fmac_f32_e32 v96, v1, v106
	v_fma_f32 v49, v2, v106, -v0
	v_fmac_f32_e32 v50, v3, v106
	ds_read2_b64 v[0:3], v250 offset0:10 offset1:59
	s_waitcnt vmcnt(2) lgkmcnt(0)
	v_mul_f32_e32 v8, v1, v83
	v_fma_f32 v97, v0, v82, -v8
	v_mul_f32_e32 v108, v0, v83
	v_mul_f32_e32 v0, v3, v83
	;; [unrolled: 1-line block ×3, first 2 shown]
	v_fmac_f32_e32 v108, v1, v82
	v_fma_f32 v53, v2, v82, -v0
	v_fmac_f32_e32 v54, v3, v82
	ds_read2_b64 v[0:3], v253 offset0:136 offset1:185
	s_waitcnt vmcnt(1)
	v_accvgpr_write_b32 a167, v13
	v_accvgpr_write_b32 a166, v12
	;; [unrolled: 1-line block ×4, first 2 shown]
	s_waitcnt lgkmcnt(0)
	v_mul_f32_e32 v8, v1, v105
	v_fma_f32 v67, v0, v104, -v8
	v_mul_f32_e32 v76, v0, v105
	v_mul_f32_e32 v0, v3, v11
	;; [unrolled: 1-line block ×3, first 2 shown]
	v_fmac_f32_e32 v76, v1, v104
	v_fma_f32 v35, v2, v10, -v0
	v_fmac_f32_e32 v36, v3, v10
	ds_read2_b64 v[0:3], v249 offset0:54 offset1:103
	global_load_dwordx4 v[220:223], v[6:7], off offset:352
	global_load_dwordx4 v[136:139], v[6:7], off offset:368
	v_add_f32_e32 v204, v67, v53
	v_add_f32_e32 v213, v76, v54
	s_waitcnt vmcnt(2) lgkmcnt(0)
	v_mul_f32_e32 v8, v1, v125
	v_fma_f32 v79, v0, v124, -v8
	v_mul_f32_e32 v84, v0, v125
	v_fmac_f32_e32 v84, v1, v124
	s_waitcnt vmcnt(1)
	v_mul_f32_e32 v0, v3, v221
	v_fma_f32 v37, v2, v220, -v0
	v_mul_lo_u16_sdwa v0, v102, s8 dst_sel:DWORD dst_unused:UNUSED_PAD src0_sel:BYTE_0 src1_sel:DWORD
	v_sub_u16_sdwa v1, v102, v0 dst_sel:DWORD dst_unused:UNUSED_PAD src0_sel:DWORD src1_sel:BYTE_1
	v_lshrrev_b16_e32 v1, 1, v1
	v_and_b32_e32 v1, 0x7f, v1
	v_add_u16_sdwa v0, v1, v0 dst_sel:DWORD dst_unused:UNUSED_PAD src0_sel:DWORD src1_sel:BYTE_1
	v_lshrrev_b16_e32 v0, 5, v0
	v_mul_lo_u16_e32 v0, 49, v0
	v_mul_f32_e32 v38, v2, v221
	v_sub_u16_e32 v0, v102, v0
	v_fmac_f32_e32 v38, v3, v220
	v_and_b32_e32 v20, 0xff, v0
	ds_read2_b64 v[0:3], v248 offset0:16 offset1:65
	s_waitcnt vmcnt(0)
	v_accvgpr_write_b32 a225, v139
	v_accvgpr_write_b32 a224, v138
	;; [unrolled: 1-line block ×4, first 2 shown]
	s_waitcnt lgkmcnt(0)
	v_mul_f32_e32 v6, v1, v13
	v_fma_f32 v43, v0, v12, -v6
	v_mad_u64_u32 v[6:7], s[12:13], v20, 48, s[10:11]
	global_load_dwordx4 v[16:19], v[6:7], off offset:336
	v_mul_f32_e32 v44, v0, v13
	v_fmac_f32_e32 v44, v1, v12
	s_waitcnt vmcnt(0)
	v_mul_f32_e32 v0, v3, v19
	v_fma_f32 v31, v2, v18, -v0
	v_mul_lo_u16_sdwa v0, v230, s8 dst_sel:DWORD dst_unused:UNUSED_PAD src0_sel:BYTE_0 src1_sel:DWORD
	v_sub_u16_sdwa v1, v230, v0 dst_sel:DWORD dst_unused:UNUSED_PAD src0_sel:DWORD src1_sel:BYTE_1
	v_lshrrev_b16_e32 v1, 1, v1
	v_and_b32_e32 v1, 0x7f, v1
	v_add_u16_sdwa v0, v1, v0 dst_sel:DWORD dst_unused:UNUSED_PAD src0_sel:DWORD src1_sel:BYTE_1
	v_lshrrev_b16_e32 v0, 5, v0
	v_mul_lo_u16_e32 v0, 49, v0
	v_mul_f32_e32 v32, v2, v19
	v_sub_u16_e32 v0, v230, v0
	v_fmac_f32_e32 v32, v3, v18
	v_and_b32_e32 v4, 0xff, v0
	ds_read2_b64 v[0:3], v250 offset0:108 offset1:157
	v_accvgpr_write_b32 a135, v19
	v_accvgpr_write_b32 a134, v18
	;; [unrolled: 1-line block ×4, first 2 shown]
	s_waitcnt lgkmcnt(0)
	v_mul_f32_e32 v8, v1, v139
	v_fma_f32 v85, v0, v138, -v8
	v_mad_u64_u32 v[8:9], s[12:13], v4, 48, s[10:11]
	global_load_dwordx4 v[98:101], v[6:7], off offset:368
	global_load_dwordx4 v[12:15], v[8:9], off offset:336
	v_mul_f32_e32 v86, v0, v139
	v_fmac_f32_e32 v86, v1, v138
	s_movk_i32 s8, 0x4e5f
	v_accvgpr_write_b32 a156, v4
	v_mov_b32_e32 v4, v246
	v_add_f32_e32 v139, v35, v85
	s_mov_b32 s12, 0x3ee1c552
	s_waitcnt vmcnt(1)
	v_mul_f32_e32 v0, v3, v101
	v_mul_f32_e32 v48, v2, v101
	v_fma_f32 v47, v2, v100, -v0
	v_fmac_f32_e32 v48, v3, v100
	ds_read2_b64 v[0:3], v252 offset0:106 offset1:155
	global_load_dwordx4 v[252:255], v[6:7], off offset:352
	v_accvgpr_write_b32 a131, v101
	v_accvgpr_write_b32 a130, v100
	;; [unrolled: 1-line block ×3, first 2 shown]
	s_waitcnt lgkmcnt(0)
	v_mul_f32_e32 v10, v1, v17
	v_fma_f32 v51, v0, v16, -v10
	v_mul_f32_e32 v52, v0, v17
	s_waitcnt vmcnt(1)
	v_mul_f32_e32 v0, v3, v13
	v_mul_f32_e32 v30, v2, v13
	v_fma_f32 v29, v2, v12, -v0
	v_fmac_f32_e32 v30, v3, v12
	v_pk_mov_b32 v[10:11], v[12:13], v[12:13] op_sel:[0,1]
	v_fmac_f32_e32 v52, v1, v16
	v_pk_mov_b32 v[12:13], v[14:15], v[14:15] op_sel:[0,1]
	ds_read2_b64 v[0:3], v249 offset0:152 offset1:201
	global_load_dwordx4 v[72:75], v[8:9], off offset:352
	global_load_dwordx4 v[14:17], v[8:9], off offset:368
	v_mov_b32_e32 v9, s11
	v_accvgpr_write_b32 a127, v13
	v_accvgpr_write_b32 a126, v12
	;; [unrolled: 1-line block ×4, first 2 shown]
	v_add_f32_e32 v115, v52, v48
	v_accvgpr_write_b32 a128, v98
	v_accvgpr_read_b32 v100, a144
	v_accvgpr_read_b32 v101, a139
	s_waitcnt vmcnt(2) lgkmcnt(0)
	v_mul_f32_e32 v6, v1, v253
	v_fma_f32 v61, v0, v252, -v6
	v_mul_f32_e32 v66, v0, v253
	v_fmac_f32_e32 v66, v1, v252
	v_accvgpr_write_b32 a212, v252
	v_accvgpr_write_b32 a213, v253
	;; [unrolled: 1-line block ×4, first 2 shown]
	s_waitcnt vmcnt(1)
	v_mul_f32_e32 v0, v3, v73
	v_fma_f32 v33, v2, v72, -v0
	v_mul_u32_u24_sdwa v0, v229, s8 dst_sel:DWORD dst_unused:UNUSED_PAD src0_sel:WORD_0 src1_sel:DWORD
	v_sub_u16_sdwa v1, v229, v0 dst_sel:DWORD dst_unused:UNUSED_PAD src0_sel:DWORD src1_sel:WORD_1
	v_lshrrev_b16_e32 v1, 1, v1
	v_add_u16_sdwa v0, v1, v0 dst_sel:DWORD dst_unused:UNUSED_PAD src0_sel:DWORD src1_sel:WORD_1
	v_lshrrev_b16_e32 v0, 5, v0
	v_mul_lo_u16_e32 v0, 49, v0
	v_sub_u16_e32 v19, v229, v0
	v_mul_f32_e32 v34, v2, v73
	v_mul_lo_u16_e32 v0, 48, v19
	v_fmac_f32_e32 v34, v3, v72
	v_add_co_u32_e32 v6, vcc, s10, v0
	ds_read2_b64 v[0:3], v248 offset0:114 offset1:163
	v_addc_co_u32_e32 v7, vcc, 0, v9, vcc
	s_waitcnt vmcnt(0)
	v_pk_mov_b32 v[94:95], v[16:17], v[16:17] op_sel:[0,1]
	v_pk_mov_b32 v[92:93], v[14:15], v[14:15] op_sel:[0,1]
	s_waitcnt lgkmcnt(0)
	v_mul_f32_e32 v8, v1, v13
	v_mul_f32_e32 v40, v0, v13
	v_fma_f32 v39, v0, v12, -v8
	v_fmac_f32_e32 v40, v1, v12
	global_load_dwordx4 v[10:13], v[6:7], off offset:336
	v_accvgpr_write_b32 a195, v75
	v_accvgpr_write_b32 a194, v74
	;; [unrolled: 1-line block ×8, first 2 shown]
	v_accvgpr_read_b32 v95, a101
	v_accvgpr_read_b32 v94, a145
	v_accvgpr_write_b32 a255, v95
	v_accvgpr_mov_b32 a101, a136
	s_waitcnt vmcnt(0)
	v_mul_f32_e32 v0, v3, v13
	v_fma_f32 v23, v2, v12, -v0
	v_mul_u32_u24_sdwa v0, v228, s8 dst_sel:DWORD dst_unused:UNUSED_PAD src0_sel:WORD_0 src1_sel:DWORD
	v_sub_u16_sdwa v1, v228, v0 dst_sel:DWORD dst_unused:UNUSED_PAD src0_sel:DWORD src1_sel:WORD_1
	v_lshrrev_b16_e32 v1, 1, v1
	v_add_u16_sdwa v0, v1, v0 dst_sel:DWORD dst_unused:UNUSED_PAD src0_sel:DWORD src1_sel:WORD_1
	v_lshrrev_b16_e32 v0, 5, v0
	v_mul_lo_u16_e32 v0, 49, v0
	v_sub_u16_e32 v1, v228, v0
	v_mul_lo_u16_e32 v0, 48, v1
	v_mul_f32_e32 v24, v2, v13
	v_pk_mov_b32 v[58:59], v[12:13], v[12:13] op_sel:[0,1]
	v_add_co_u32_e32 v8, vcc, s10, v0
	v_fmac_f32_e32 v24, v3, v12
	v_pk_mov_b32 v[56:57], v[10:11], v[10:11] op_sel:[0,1]
	v_accvgpr_write_b32 a147, v1
	v_addc_co_u32_e32 v9, vcc, 0, v9, vcc
	ds_read2_b64 v[0:3], v250 offset0:206 offset1:255
	global_load_dwordx4 v[68:71], v[6:7], off offset:368
	global_load_dwordx4 v[12:15], v[8:9], off offset:336
	;; [unrolled: 1-line block ×3, first 2 shown]
	v_accvgpr_write_b32 a119, v59
	v_accvgpr_write_b32 a118, v58
	s_waitcnt lgkmcnt(0)
	v_mul_f32_e32 v10, v1, v17
	v_fma_f32 v77, v0, v16, -v10
	v_mul_f32_e32 v78, v0, v17
	v_fmac_f32_e32 v78, v1, v16
	v_accvgpr_write_b32 a117, v57
	v_accvgpr_write_b32 a116, v56
	v_add_f32_e32 v249, v30, v78
	s_movk_i32 s8, 0x13b0
	s_waitcnt vmcnt(2)
	v_mul_f32_e32 v0, v3, v71
	v_mul_f32_e32 v42, v2, v71
	v_fma_f32 v41, v2, v70, -v0
	v_fmac_f32_e32 v42, v3, v70
	ds_read2_b64 v[0:3], v251 offset0:76 offset1:125
	s_waitcnt vmcnt(1)
	v_accvgpr_write_b32 a115, v15
	v_accvgpr_write_b32 a114, v14
	;; [unrolled: 1-line block ×4, first 2 shown]
	s_waitcnt lgkmcnt(0)
	v_mul_f32_e32 v10, v1, v57
	v_fma_f32 v45, v0, v56, -v10
	v_mul_f32_e32 v46, v0, v57
	v_mul_f32_e32 v0, v3, v13
	;; [unrolled: 1-line block ×3, first 2 shown]
	v_fmac_f32_e32 v46, v1, v56
	v_fma_f32 v21, v2, v12, -v0
	v_fmac_f32_e32 v22, v3, v12
	ds_read2_b64 v[0:3], v243 offset0:84 offset1:133
	v_add_f32_e32 v216, v45, v41
	v_add_f32_e32 v225, v46, v42
	v_accvgpr_write_b32 a123, v71
	v_accvgpr_write_b32 a122, v70
	s_waitcnt lgkmcnt(0)
	v_mul_f32_e32 v10, v3, v125
	v_fma_f32 v205, v2, v124, -v10
	v_mul_f32_e32 v206, v2, v125
	v_mul_f32_e32 v2, v1, v15
	v_mul_f32_e32 v26, v0, v15
	v_fmac_f32_e32 v206, v3, v124
	v_fma_f32 v25, v0, v14, -v2
	v_fmac_f32_e32 v26, v1, v14
	ds_read2_b64 v[0:3], v245 offset0:122 offset1:171
	global_load_dwordx4 v[62:65], v[8:9], off offset:352
	global_load_dwordx4 v[12:15], v[8:9], off offset:368
	ds_read2_b64 v[56:59], v247 offset0:100 offset1:149
	v_accvgpr_write_b32 a121, v69
	v_accvgpr_write_b32 a120, v68
	s_waitcnt vmcnt(2) lgkmcnt(1)
	v_mul_f32_e32 v6, v1, v89
	v_fma_f32 v55, v0, v88, -v6
	v_mul_f32_e32 v60, v0, v89
	v_fmac_f32_e32 v60, v1, v88
	s_waitcnt lgkmcnt(0)
	v_mul_f32_e32 v131, v56, v81
	v_fmac_f32_e32 v131, v57, v80
	v_add_f32_e32 v214, v50, v131
	v_accvgpr_write_b32 a183, v91
	v_accvgpr_write_b32 a182, v90
	;; [unrolled: 1-line block ×4, first 2 shown]
	v_accvgpr_read_b32 v88, a144
	v_sub_f32_e32 v50, v50, v131
	s_waitcnt vmcnt(1)
	v_mul_f32_e32 v0, v3, v63
	v_mul_f32_e32 v28, v2, v63
	v_fma_f32 v27, v2, v62, -v0
	v_fmac_f32_e32 v28, v3, v62
	ds_read2_b64 v[0:3], v246 offset0:92 offset1:141
	s_waitcnt vmcnt(0)
	v_pk_mov_b32 v[16:17], v[14:15], v[14:15] op_sel:[0,1]
	v_accvgpr_write_b32 a151, v65
	v_accvgpr_write_b32 a150, v64
	;; [unrolled: 1-line block ×3, first 2 shown]
	s_waitcnt lgkmcnt(0)
	v_mul_f32_e32 v6, v1, v127
	v_fma_f32 v218, v0, v126, -v6
	v_mul_f32_e32 v219, v0, v127
	v_mul_f32_e32 v0, v3, v127
	;; [unrolled: 1-line block ×3, first 2 shown]
	v_fmac_f32_e32 v219, v1, v126
	v_fma_f32 v128, v2, v126, -v0
	v_fmac_f32_e32 v129, v3, v126
	ds_read2_b64 v[0:3], v5 offset0:38 offset1:87
	v_add_f32_e32 v234, v205, v218
	v_add_f32_e32 v239, v206, v219
	;; [unrolled: 1-line block ×4, first 2 shown]
	s_waitcnt lgkmcnt(0)
	v_mul_f32_e32 v6, v3, v105
	v_fma_f32 v228, v2, v104, -v6
	ds_read2_b64 v[6:9], v242 offset0:130 offset1:179
	v_mul_f32_e32 v229, v2, v105
	v_fmac_f32_e32 v229, v3, v104
	v_add_f32_e32 v232, v228, v97
	v_add_f32_e32 v237, v229, v108
	s_waitcnt lgkmcnt(0)
	v_mul_f32_e32 v2, v9, v81
	v_mul_f32_e32 v231, v8, v81
	v_fma_f32 v230, v8, v80, -v2
	v_fmac_f32_e32 v231, v9, v80
	ds_read2_b64 v[8:11], v193 offset1:49
	v_mul_f32_e32 v2, v57, v81
	v_add_f32_e32 v233, v87, v230
	v_fma_f32 v130, v56, v80, -v2
	v_add_f32_e32 v2, v233, v232
	v_add_f32_e32 v238, v96, v231
	;; [unrolled: 1-line block ×6, first 2 shown]
	s_waitcnt lgkmcnt(0)
	v_add_f32_e32 v2, v235, v8
	v_add_f32_e32 v8, v207, v204
	;; [unrolled: 1-line block ×6, first 2 shown]
	v_mul_f32_e32 v10, v7, v65
	v_mul_f32_e32 v57, v6, v65
	v_fma_f32 v56, v6, v64, -v10
	v_fmac_f32_e32 v57, v7, v64
	ds_read_b64 v[6:7], v193 offset:18816
	v_add_f32_e32 v3, v236, v9
	v_add_f32_e32 v9, v210, v11
	v_accvgpr_write_b32 a148, v62
	v_pk_mov_b32 v[14:15], v[12:13], v[12:13] op_sel:[0,1]
	s_waitcnt lgkmcnt(0)
	v_mul_f32_e32 v10, v7, v17
	v_fma_f32 v62, v6, v16, -v10
	ds_read2_b64 v[10:13], v244 offset0:168 offset1:217
	v_mul_f32_e32 v109, v6, v17
	v_fmac_f32_e32 v109, v7, v16
	v_add_f32_e32 v63, v21, v62
	v_add_f32_e32 v118, v27, v56
	s_waitcnt lgkmcnt(0)
	v_mul_f32_e32 v6, v13, v15
	v_fma_f32 v116, v12, v14, -v6
	v_mul_f32_e32 v117, v12, v15
	v_fmac_f32_e32 v117, v13, v14
	v_add_f32_e32 v64, v25, v116
	v_add_f32_e32 v6, v64, v63
	;; [unrolled: 1-line block ×8, first 2 shown]
	v_mul_f32_e32 v6, v11, v69
	v_mul_f32_e32 v201, v10, v69
	v_fma_f32 v200, v10, v68, -v6
	v_fmac_f32_e32 v201, v11, v68
	ds_read2_b64 v[10:13], v242 offset0:32 offset1:81
	v_add_f32_e32 v217, v23, v200
	v_add_f32_e32 v226, v24, v201
	v_accvgpr_write_b32 a155, v17
	v_accvgpr_write_b32 a154, v16
	s_waitcnt lgkmcnt(0)
	v_mul_f32_e32 v6, v13, v91
	v_fma_f32 v202, v12, v90, -v6
	v_mul_f32_e32 v203, v12, v91
	v_mul_f32_e32 v6, v11, v75
	;; [unrolled: 1-line block ×3, first 2 shown]
	v_fmac_f32_e32 v203, v13, v90
	v_fma_f32 v240, v10, v74, -v6
	v_fmac_f32_e32 v241, v11, v74
	ds_read2_b64 v[10:13], v193 offset0:196 offset1:245
	v_add_f32_e32 v224, v55, v202
	v_add_f32_e32 v6, v217, v216
	;; [unrolled: 1-line block ×6, first 2 shown]
	v_accvgpr_write_b32 a153, v15
	v_accvgpr_write_b32 a152, v14
	s_waitcnt lgkmcnt(0)
	v_add_f32_e32 v6, v211, v12
	v_add_f32_e32 v7, v212, v13
	ds_read2_b64 v[12:15], v244 offset0:70 offset1:119
	v_add_f32_e32 v242, v29, v77
	v_add_f32_e32 v246, v33, v240
	;; [unrolled: 1-line block ×3, first 2 shown]
	v_mul_f32_e32 v74, v58, v137
	s_waitcnt lgkmcnt(0)
	v_mul_f32_e32 v65, v15, v93
	v_fma_f32 v244, v14, v92, -v65
	v_mul_f32_e32 v245, v14, v93
	v_fmac_f32_e32 v245, v15, v92
	v_add_f32_e32 v243, v39, v244
	v_add_f32_e32 v14, v243, v242
	;; [unrolled: 1-line block ×6, first 2 shown]
	v_mul_f32_e32 v14, v13, v99
	v_mul_f32_e32 v68, v12, v99
	v_fma_f32 v65, v12, v98, -v14
	v_fmac_f32_e32 v68, v13, v98
	ds_read2_b64 v[12:15], v4 offset0:190 offset1:239
	v_sub_f32_e32 v87, v87, v230
	v_fmac_f32_e32 v74, v59, v136
	v_sub_f32_e32 v96, v96, v231
	v_sub_f32_e32 v49, v49, v130
	s_waitcnt lgkmcnt(0)
	v_mul_f32_e32 v69, v15, v255
	v_fma_f32 v69, v14, v254, -v69
	v_mul_f32_e32 v70, v14, v255
	v_mul_f32_e32 v14, v13, v223
	v_fma_f32 v71, v12, v222, -v14
	v_mul_f32_e32 v72, v12, v223
	v_mul_f32_e32 v12, v59, v137
	v_fma_f32 v73, v58, v136, -v12
	v_sub_f32_e32 v58, v228, v97
	v_sub_f32_e32 v97, v218, v205
	v_sub_f32_e32 v59, v229, v108
	v_sub_f32_e32 v108, v219, v206
	v_add_f32_e32 v230, v97, v87
	v_sub_f32_e32 v205, v233, v232
	v_sub_f32_e32 v206, v232, v234
	;; [unrolled: 1-line block ×7, first 2 shown]
	v_add_f32_e32 v230, v230, v58
	v_add_f32_e32 v58, v108, v96
	v_sub_f32_e32 v232, v108, v96
	v_mov_b32_e32 v234, v2
	v_sub_f32_e32 v219, v238, v237
	v_sub_f32_e32 v229, v239, v238
	v_sub_f32_e32 v108, v59, v108
	v_sub_f32_e32 v96, v96, v59
	v_add_f32_e32 v233, v58, v59
	v_fmac_f32_e32 v234, 0xbf955555, v235
	v_mov_b32_e32 v235, v3
	v_mul_f32_e32 v58, 0x3f4a47b2, v206
	v_mul_f32_e32 v59, 0x3f4a47b2, v228
	;; [unrolled: 1-line block ×4, first 2 shown]
	v_fmac_f32_e32 v235, 0xbf955555, v236
	v_fma_f32 v231, v205, s7, -v58
	v_fmac_f32_e32 v58, 0x3d64c772, v218
	v_fma_f32 v232, v219, s7, -v59
	;; [unrolled: 2-line block ×4, first 2 shown]
	v_fmac_f32_e32 v228, 0x3eae86e6, v108
	v_add_f32_e32 v238, v58, v234
	v_add_f32_e32 v239, v59, v235
	v_fmac_f32_e32 v206, 0x3ee1c552, v230
	v_fmac_f32_e32 v228, 0x3ee1c552, v233
	v_add_f32_e32 v58, v228, v238
	v_sub_f32_e32 v59, v239, v206
	v_fmac_f32_e32 v70, v15, v254
	ds_read2_b64 v[252:255], v193 offset0:98 offset1:147
	s_waitcnt lgkmcnt(0)
	; wave barrier
	s_waitcnt lgkmcnt(0)
	ds_write2_b64 v193, v[2:3], v[58:59] offset1:49
	v_mul_f32_e32 v2, 0x3d64c772, v218
	v_mul_f32_e32 v3, 0x3d64c772, v229
	;; [unrolled: 1-line block ×4, first 2 shown]
	v_fma_f32 v2, v205, s6, -v2
	v_fma_f32 v3, v219, s6, -v3
	v_fmac_f32_e32 v87, 0xbeae86e6, v97
	v_fmac_f32_e32 v96, 0xbeae86e6, v108
	v_add_f32_e32 v97, v2, v234
	v_add_f32_e32 v108, v231, v234
	;; [unrolled: 1-line block ×4, first 2 shown]
	v_fmac_f32_e32 v236, 0x3ee1c552, v230
	v_fmac_f32_e32 v87, 0x3ee1c552, v230
	;; [unrolled: 1-line block ×4, first 2 shown]
	v_add_f32_e32 v2, v96, v108
	v_sub_f32_e32 v3, v218, v87
	v_sub_f32_e32 v58, v97, v237
	v_add_f32_e32 v59, v236, v205
	ds_write2_b64 v193, v[2:3], v[58:59] offset0:98 offset1:147
	v_add_f32_e32 v2, v237, v97
	v_sub_f32_e32 v3, v205, v236
	v_sub_f32_e32 v58, v108, v96
	v_add_f32_e32 v59, v87, v218
	ds_write2_b64 v193, v[2:3], v[58:59] offset0:196 offset1:245
	v_sub_f32_e32 v2, v238, v228
	v_add_f32_e32 v3, v206, v239
	ds_write2_b64 v88, v[2:3], v[8:9] offset0:38 offset1:87
	v_sub_f32_e32 v2, v67, v53
	v_sub_f32_e32 v53, v128, v79
	;; [unrolled: 1-line block ×4, first 2 shown]
	v_add_f32_e32 v87, v53, v49
	v_sub_f32_e32 v96, v53, v49
	v_sub_f32_e32 v49, v49, v2
	;; [unrolled: 1-line block ×5, first 2 shown]
	v_add_f32_e32 v87, v87, v2
	v_add_f32_e32 v2, v54, v50
	v_sub_f32_e32 v97, v54, v50
	v_sub_f32_e32 v50, v50, v3
	v_mul_f32_e32 v96, 0xbf08b237, v96
	v_mul_f32_e32 v130, 0xbf5ff5aa, v49
	v_sub_f32_e32 v58, v207, v204
	v_sub_f32_e32 v67, v208, v207
	;; [unrolled: 1-line block ×5, first 2 shown]
	v_add_f32_e32 v108, v2, v3
	v_mov_b32_e32 v128, v8
	v_mov_b32_e32 v129, v9
	v_fma_f32 v49, v49, s9, -v96
	v_fmac_f32_e32 v96, 0x3eae86e6, v53
	v_fmac_f32_e32 v130, 0xbeae86e6, v53
	v_mul_f32_e32 v53, 0xbf08b237, v97
	v_mul_f32_e32 v97, 0xbf5ff5aa, v50
	;; [unrolled: 1-line block ×4, first 2 shown]
	v_fmac_f32_e32 v128, 0xbf955555, v209
	v_fmac_f32_e32 v129, 0xbf955555, v210
	v_fma_f32 v50, v50, s9, -v53
	v_fmac_f32_e32 v53, 0x3eae86e6, v54
	v_fmac_f32_e32 v97, 0xbeae86e6, v54
	v_fma_f32 v8, v58, s7, -v2
	v_fmac_f32_e32 v2, 0x3d64c772, v67
	v_fma_f32 v9, v76, s7, -v3
	v_fmac_f32_e32 v3, 0x3d64c772, v84
	v_add_f32_e32 v54, v2, v128
	v_add_f32_e32 v59, v3, v129
	;; [unrolled: 1-line block ×4, first 2 shown]
	v_fmac_f32_e32 v96, 0x3ee1c552, v87
	v_fmac_f32_e32 v53, 0x3ee1c552, v108
	;; [unrolled: 1-line block ×4, first 2 shown]
	v_add_f32_e32 v2, v53, v54
	v_sub_f32_e32 v3, v59, v96
	v_add_f32_e32 v8, v97, v79
	v_sub_f32_e32 v9, v131, v130
	v_add_f32_e32 v75, v51, v47
	v_add_f32_e32 v102, v31, v65
	ds_write2_b64 v88, v[2:3], v[8:9] offset0:136 offset1:185
	v_mul_f32_e32 v2, 0x3d64c772, v67
	v_mul_f32_e32 v3, 0x3d64c772, v84
	v_add_f32_e32 v103, v61, v69
	v_add_f32_e32 v12, v102, v75
	;; [unrolled: 1-line block ×3, first 2 shown]
	v_fma_f32 v2, v58, s6, -v2
	v_fma_f32 v3, v76, s6, -v3
	v_add_f32_e32 v114, v103, v12
	v_add_f32_e32 v137, v66, v70
	v_add_f32_e32 v12, v136, v115
	v_add_f32_e32 v8, v2, v128
	v_add_f32_e32 v9, v3, v129
	v_fmac_f32_e32 v49, 0x3ee1c552, v87
	v_fmac_f32_e32 v50, 0x3ee1c552, v108
	v_add_f32_e32 v138, v137, v12
	v_add_f32_e32 v194, v43, v73
	v_sub_f32_e32 v2, v8, v50
	v_add_f32_e32 v3, v49, v9
	v_add_f32_e32 v8, v50, v8
	v_sub_f32_e32 v9, v9, v49
	v_accvgpr_read_b32 v76, a139
	v_add_f32_e32 v16, v119, v0
	v_fmac_f32_e32 v72, v13, v222
	v_add_f32_e32 v13, v138, v255
	v_add_f32_e32 v195, v37, v71
	;; [unrolled: 1-line block ×5, first 2 shown]
	ds_write2_b64 v76, v[2:3], v[8:9] offset0:106 offset1:155
	v_sub_f32_e32 v2, v79, v97
	v_add_f32_e32 v3, v130, v131
	v_sub_f32_e32 v8, v54, v53
	v_add_f32_e32 v9, v96, v59
	v_add_f32_e32 v17, v5, v1
	;; [unrolled: 1-line block ×6, first 2 shown]
	ds_write2_b64 v95, v[2:3], v[8:9] offset0:76 offset1:125
	v_sub_f32_e32 v2, v35, v85
	v_sub_f32_e32 v8, v43, v73
	;; [unrolled: 1-line block ×3, first 2 shown]
	v_mov_b32_e32 v93, v4
	v_add_f32_e32 v4, v1, v14
	v_sub_f32_e32 v3, v36, v86
	v_sub_f32_e32 v9, v44, v74
	;; [unrolled: 1-line block ×6, first 2 shown]
	v_add_f32_e32 v1, v35, v8
	v_add_f32_e32 v15, v4, v253
	v_sub_f32_e32 v50, v35, v8
	v_sub_f32_e32 v35, v2, v35
	;; [unrolled: 1-line block ×3, first 2 shown]
	v_add_f32_e32 v1, v1, v2
	v_add_f32_e32 v2, v36, v9
	;; [unrolled: 1-line block ×3, first 2 shown]
	v_sub_f32_e32 v38, v139, v195
	v_sub_f32_e32 v53, v36, v9
	v_add_f32_e32 v54, v2, v3
	v_mov_b32_e32 v59, v15
	v_accvgpr_read_b32 v2, a146
	v_sub_f32_e32 v37, v194, v139
	v_sub_f32_e32 v43, v195, v194
	;; [unrolled: 1-line block ×4, first 2 shown]
	v_mov_b32_e32 v58, v14
	v_fmac_f32_e32 v59, 0xbf955555, v4
	v_lshlrev_b32_e32 v73, 3, v2
	v_mul_f32_e32 v2, 0x3f4a47b2, v38
	v_mul_f32_e32 v3, 0x3f4a47b2, v49
	;; [unrolled: 1-line block ×4, first 2 shown]
	v_fmac_f32_e32 v58, 0xbf955555, v254
	v_fma_f32 v49, v37, s7, -v2
	v_fmac_f32_e32 v2, 0x3d64c772, v43
	v_fma_f32 v50, v44, s7, -v3
	;; [unrolled: 2-line block ×4, first 2 shown]
	v_fmac_f32_e32 v38, 0x3eae86e6, v36
	v_add_f32_e32 v71, v2, v58
	v_add_f32_e32 v72, v3, v59
	v_fmac_f32_e32 v4, 0x3ee1c552, v1
	v_fmac_f32_e32 v38, 0x3ee1c552, v54
	v_add_f32_e32 v2, v38, v71
	v_sub_f32_e32 v3, v72, v4
	v_add_u32_e32 v74, 0x1000, v73
	ds_write2_b64 v74, v[14:15], v[2:3] offset0:174 offset1:223
	v_mul_f32_e32 v2, 0x3d64c772, v43
	v_mul_f32_e32 v0, 0x3d64c772, v0
	;; [unrolled: 1-line block ×4, first 2 shown]
	v_fma_f32 v2, v37, s6, -v2
	v_fma_f32 v0, v44, s6, -v0
	v_fmac_f32_e32 v14, 0xbeae86e6, v35
	v_fmac_f32_e32 v15, 0xbeae86e6, v36
	v_add_f32_e32 v35, v2, v58
	v_add_f32_e32 v36, v49, v58
	v_add_f32_e32 v0, v0, v59
	v_add_f32_e32 v37, v50, v59
	v_fmac_f32_e32 v53, 0x3ee1c552, v1
	v_fmac_f32_e32 v14, 0x3ee1c552, v1
	v_fmac_f32_e32 v67, 0x3ee1c552, v54
	v_fmac_f32_e32 v15, 0x3ee1c552, v54
	v_add_f32_e32 v2, v15, v36
	v_sub_f32_e32 v3, v37, v14
	v_sub_f32_e32 v8, v35, v67
	v_add_f32_e32 v9, v53, v0
	v_add_u32_e32 v1, 0x1800, v73
	ds_write2_b64 v1, v[2:3], v[8:9] offset0:16 offset1:65
	v_add_f32_e32 v2, v67, v35
	v_sub_f32_e32 v3, v0, v53
	v_sub_f32_e32 v8, v36, v15
	v_add_f32_e32 v9, v14, v37
	ds_write2_b64 v1, v[2:3], v[8:9] offset0:114 offset1:163
	v_sub_f32_e32 v2, v31, v65
	v_sub_f32_e32 v8, v69, v61
	;; [unrolled: 1-line block ×5, first 2 shown]
	v_add_f32_e32 v37, v8, v2
	v_accvgpr_write_b32 a246, v1
	v_sub_f32_e32 v1, v52, v48
	v_sub_f32_e32 v15, v75, v103
	;; [unrolled: 1-line block ×6, first 2 shown]
	v_add_f32_e32 v0, v37, v0
	v_add_f32_e32 v2, v9, v3
	v_sub_f32_e32 v37, v9, v3
	v_sub_f32_e32 v14, v102, v75
	;; [unrolled: 1-line block ×7, first 2 shown]
	v_add_f32_e32 v1, v2, v1
	v_mov_b32_e32 v48, v12
	v_mov_b32_e32 v49, v13
	v_lshlrev_b32_e32 v53, 3, v20
	v_mul_f32_e32 v2, 0x3f4a47b2, v15
	v_mul_f32_e32 v3, 0x3f4a47b2, v35
	;; [unrolled: 1-line block ×4, first 2 shown]
	v_fmac_f32_e32 v48, 0xbf955555, v114
	v_fmac_f32_e32 v49, 0xbf955555, v138
	v_fma_f32 v35, v14, s7, -v2
	v_fmac_f32_e32 v2, 0x3d64c772, v31
	v_fma_f32 v37, v32, s7, -v3
	;; [unrolled: 2-line block ×4, first 2 shown]
	v_fmac_f32_e32 v20, 0x3eae86e6, v9
	v_add_f32_e32 v51, v2, v48
	v_add_f32_e32 v52, v3, v49
	v_fmac_f32_e32 v15, 0x3ee1c552, v0
	v_fmac_f32_e32 v20, 0x3ee1c552, v1
	v_add_f32_e32 v2, v20, v51
	v_sub_f32_e32 v3, v52, v15
	v_add_u32_e32 v54, 0x2000, v53
	ds_write2_b64 v54, v[12:13], v[2:3] offset0:5 offset1:54
	v_mul_f32_e32 v2, 0x3d64c772, v31
	v_mul_f32_e32 v3, 0x3d64c772, v36
	;; [unrolled: 1-line block ×4, first 2 shown]
	v_fma_f32 v2, v14, s6, -v2
	v_fma_f32 v3, v32, s6, -v3
	v_fmac_f32_e32 v12, 0xbeae86e6, v8
	v_fmac_f32_e32 v13, 0xbeae86e6, v9
	v_add_f32_e32 v14, v2, v48
	v_add_f32_e32 v31, v35, v48
	;; [unrolled: 1-line block ×4, first 2 shown]
	v_fmac_f32_e32 v43, 0x3ee1c552, v0
	v_fmac_f32_e32 v12, 0x3ee1c552, v0
	;; [unrolled: 1-line block ×4, first 2 shown]
	v_add_f32_e32 v2, v13, v31
	v_sub_f32_e32 v3, v35, v12
	v_sub_f32_e32 v8, v14, v50
	v_add_f32_e32 v9, v43, v32
	ds_write2_b64 v54, v[2:3], v[8:9] offset0:103 offset1:152
	v_add_f32_e32 v2, v50, v14
	v_sub_f32_e32 v3, v32, v43
	v_sub_f32_e32 v8, v31, v13
	v_add_f32_e32 v9, v12, v35
	ds_write2_b64 v54, v[2:3], v[8:9] offset0:201 offset1:250
	v_sub_f32_e32 v0, v29, v77
	v_sub_f32_e32 v2, v39, v244
	;; [unrolled: 1-line block ×6, first 2 shown]
	v_add_f32_e32 v32, v8, v2
	v_sub_f32_e32 v33, v8, v2
	v_sub_f32_e32 v34, v2, v0
	v_add_f32_e32 v2, v9, v3
	v_add_f32_e32 v10, v247, v10
	;; [unrolled: 1-line block ×3, first 2 shown]
	v_sub_f32_e32 v13, v242, v246
	v_sub_f32_e32 v30, v249, v251
	;; [unrolled: 1-line block ×3, first 2 shown]
	v_add_f32_e32 v0, v32, v0
	v_sub_f32_e32 v32, v9, v3
	v_sub_f32_e32 v9, v1, v9
	;; [unrolled: 1-line block ×3, first 2 shown]
	v_add_f32_e32 v1, v2, v1
	v_accvgpr_read_b32 v2, a156
	v_sub_f32_e32 v12, v243, v242
	v_sub_f32_e32 v14, v246, v243
	;; [unrolled: 1-line block ×4, first 2 shown]
	v_mov_b32_e32 v36, v10
	v_mov_b32_e32 v37, v11
	v_lshlrev_b32_e32 v47, 3, v2
	v_mul_f32_e32 v2, 0x3f4a47b2, v13
	v_mul_f32_e32 v3, 0x3f4a47b2, v30
	v_mul_f32_e32 v13, 0xbf08b237, v33
	v_mul_f32_e32 v30, 0xbf08b237, v32
	v_fmac_f32_e32 v36, 0xbf955555, v247
	v_fmac_f32_e32 v37, 0xbf955555, v248
	v_fma_f32 v32, v12, s7, -v2
	v_fmac_f32_e32 v2, 0x3d64c772, v14
	v_fma_f32 v33, v29, s7, -v3
	v_fmac_f32_e32 v3, 0x3d64c772, v31
	v_fma_f32 v39, v34, s9, -v13
	v_fmac_f32_e32 v13, 0x3eae86e6, v8
	v_fma_f32 v40, v35, s9, -v30
	v_fmac_f32_e32 v30, 0x3eae86e6, v9
	v_add_f32_e32 v43, v2, v36
	v_add_f32_e32 v44, v3, v37
	v_fmac_f32_e32 v13, 0x3ee1c552, v0
	v_fmac_f32_e32 v30, 0x3ee1c552, v1
	v_add_f32_e32 v2, v30, v43
	v_sub_f32_e32 v3, v44, v13
	v_add_u32_e32 v48, 0x2800, v47
	ds_write2_b64 v48, v[10:11], v[2:3] offset0:92 offset1:141
	v_mul_f32_e32 v2, 0x3d64c772, v14
	v_mul_f32_e32 v3, 0x3d64c772, v31
	;; [unrolled: 1-line block ×4, first 2 shown]
	v_fma_f32 v2, v12, s6, -v2
	v_fma_f32 v3, v29, s6, -v3
	v_fmac_f32_e32 v10, 0xbeae86e6, v8
	v_fmac_f32_e32 v11, 0xbeae86e6, v9
	v_add_f32_e32 v12, v2, v36
	v_add_f32_e32 v14, v32, v36
	v_add_f32_e32 v29, v3, v37
	v_add_f32_e32 v31, v33, v37
	v_fmac_f32_e32 v39, 0x3ee1c552, v0
	v_fmac_f32_e32 v10, 0x3ee1c552, v0
	;; [unrolled: 1-line block ×4, first 2 shown]
	v_add_f32_e32 v2, v11, v14
	v_sub_f32_e32 v3, v31, v10
	v_sub_f32_e32 v8, v12, v40
	v_add_f32_e32 v9, v39, v29
	ds_write2_b64 v48, v[2:3], v[8:9] offset0:190 offset1:239
	v_add_f32_e32 v2, v40, v12
	v_sub_f32_e32 v3, v29, v39
	v_sub_f32_e32 v8, v14, v11
	v_add_f32_e32 v9, v10, v31
	v_add_u32_e32 v0, 0x3000, v47
	ds_write2_b64 v0, v[2:3], v[8:9] offset0:32 offset1:81
	v_sub_f32_e32 v2, v23, v200
	v_sub_f32_e32 v8, v202, v55
	v_accvgpr_write_b32 a244, v0
	v_sub_f32_e32 v0, v45, v41
	v_sub_f32_e32 v3, v24, v201
	;; [unrolled: 1-line block ×3, first 2 shown]
	v_add_f32_e32 v29, v8, v2
	v_sub_f32_e32 v1, v46, v42
	v_sub_f32_e32 v11, v216, v224
	;; [unrolled: 1-line block ×6, first 2 shown]
	v_add_f32_e32 v0, v29, v0
	v_add_f32_e32 v2, v9, v3
	v_sub_f32_e32 v29, v9, v3
	v_sub_f32_e32 v10, v217, v216
	;; [unrolled: 1-line block ×7, first 2 shown]
	v_add_f32_e32 v1, v2, v1
	v_mov_b32_e32 v34, v6
	v_mov_b32_e32 v35, v7
	v_lshlrev_b32_e32 v40, 3, v19
	v_mul_f32_e32 v2, 0x3f4a47b2, v11
	v_mul_f32_e32 v3, 0x3f4a47b2, v23
	;; [unrolled: 1-line block ×4, first 2 shown]
	v_fmac_f32_e32 v34, 0xbf955555, v211
	v_fmac_f32_e32 v35, 0xbf955555, v212
	v_fma_f32 v23, v10, s7, -v2
	v_fmac_f32_e32 v2, 0x3d64c772, v12
	v_fma_f32 v29, v14, s7, -v3
	;; [unrolled: 2-line block ×4, first 2 shown]
	v_fmac_f32_e32 v19, 0x3eae86e6, v9
	v_add_f32_e32 v37, v2, v34
	v_add_f32_e32 v39, v3, v35
	v_fmac_f32_e32 v11, 0x3ee1c552, v0
	v_fmac_f32_e32 v19, 0x3ee1c552, v1
	v_add_f32_e32 v2, v19, v37
	v_sub_f32_e32 v3, v39, v11
	v_add_u32_e32 v41, 0x3000, v40
	ds_write2_b64 v41, v[6:7], v[2:3] offset0:179 offset1:228
	v_mul_f32_e32 v2, 0x3d64c772, v12
	v_fma_f32 v2, v10, s6, -v2
	v_mul_f32_e32 v10, 0xbf5ff5aa, v32
	v_mul_f32_e32 v3, 0x3d64c772, v24
	v_fmac_f32_e32 v10, 0xbeae86e6, v8
	v_mul_f32_e32 v8, 0xbf5ff5aa, v33
	v_fma_f32 v3, v14, s6, -v3
	v_fmac_f32_e32 v8, 0xbeae86e6, v9
	v_add_f32_e32 v9, v2, v34
	v_add_f32_e32 v12, v23, v34
	;; [unrolled: 1-line block ×4, first 2 shown]
	v_fmac_f32_e32 v31, 0x3ee1c552, v0
	v_fmac_f32_e32 v10, 0x3ee1c552, v0
	;; [unrolled: 1-line block ×4, first 2 shown]
	v_add_f32_e32 v2, v8, v12
	v_sub_f32_e32 v3, v23, v10
	v_sub_f32_e32 v6, v9, v36
	v_add_f32_e32 v7, v31, v14
	v_add_u32_e32 v0, 0x3800, v40
	ds_write2_b64 v0, v[2:3], v[6:7] offset0:21 offset1:70
	v_add_f32_e32 v2, v36, v9
	v_sub_f32_e32 v3, v14, v31
	v_sub_f32_e32 v6, v12, v8
	v_add_f32_e32 v7, v10, v23
	ds_write2_b64 v0, v[2:3], v[6:7] offset0:119 offset1:168
	v_accvgpr_write_b32 a220, v0
	v_sub_f32_e32 v0, v21, v62
	v_sub_f32_e32 v2, v25, v116
	;; [unrolled: 1-line block ×6, first 2 shown]
	v_add_f32_e32 v21, v6, v2
	v_sub_f32_e32 v22, v6, v2
	v_sub_f32_e32 v23, v2, v0
	v_add_f32_e32 v2, v7, v3
	v_sub_f32_e32 v9, v63, v118
	v_sub_f32_e32 v14, v18, v123
	;; [unrolled: 1-line block ×3, first 2 shown]
	v_add_f32_e32 v0, v21, v0
	v_sub_f32_e32 v21, v7, v3
	v_sub_f32_e32 v7, v1, v7
	;; [unrolled: 1-line block ×3, first 2 shown]
	v_add_f32_e32 v1, v2, v1
	v_mov_b32_e32 v26, v17
	v_accvgpr_read_b32 v2, a147
	v_sub_f32_e32 v8, v64, v63
	v_sub_f32_e32 v10, v118, v64
	;; [unrolled: 1-line block ×4, first 2 shown]
	v_mov_b32_e32 v25, v16
	v_fmac_f32_e32 v26, 0xbf955555, v5
	v_lshlrev_b32_e32 v31, 3, v2
	v_mul_f32_e32 v2, 0x3f4a47b2, v9
	v_mul_f32_e32 v3, 0x3f4a47b2, v14
	;; [unrolled: 1-line block ×4, first 2 shown]
	v_fmac_f32_e32 v25, 0xbf955555, v119
	v_fma_f32 v14, v8, s7, -v2
	v_fmac_f32_e32 v2, 0x3d64c772, v10
	v_fma_f32 v21, v12, s7, -v3
	;; [unrolled: 2-line block ×4, first 2 shown]
	v_fmac_f32_e32 v9, 0x3eae86e6, v7
	v_add_f32_e32 v28, v2, v25
	v_add_f32_e32 v29, v3, v26
	v_fmac_f32_e32 v5, 0x3ee1c552, v0
	v_fmac_f32_e32 v9, 0x3ee1c552, v1
	v_add_f32_e32 v2, v9, v28
	v_sub_f32_e32 v3, v29, v5
	v_add_u32_e32 v32, 0x4000, v31
	ds_write2_b64 v32, v[16:17], v[2:3] offset0:10 offset1:59
	v_mul_f32_e32 v2, 0x3d64c772, v10
	v_fma_f32 v2, v8, s6, -v2
	v_mul_f32_e32 v8, 0xbf5ff5aa, v23
	v_mul_f32_e32 v3, 0x3d64c772, v18
	v_fmac_f32_e32 v8, 0xbeae86e6, v6
	v_mul_f32_e32 v6, 0xbf5ff5aa, v24
	v_fma_f32 v3, v12, s6, -v3
	v_fmac_f32_e32 v6, 0xbeae86e6, v7
	v_add_f32_e32 v7, v2, v25
	v_add_f32_e32 v10, v14, v25
	;; [unrolled: 1-line block ×4, first 2 shown]
	v_fmac_f32_e32 v22, 0x3ee1c552, v0
	v_fmac_f32_e32 v8, 0x3ee1c552, v0
	;; [unrolled: 1-line block ×4, first 2 shown]
	v_add_f32_e32 v0, v6, v10
	v_sub_f32_e32 v1, v14, v8
	v_sub_f32_e32 v2, v7, v27
	v_add_f32_e32 v3, v22, v12
	ds_write2_b64 v32, v[0:1], v[2:3] offset0:108 offset1:157
	v_add_f32_e32 v0, v27, v7
	v_sub_f32_e32 v1, v12, v22
	v_sub_f32_e32 v2, v10, v6
	v_add_f32_e32 v3, v8, v14
	ds_write2_b64 v32, v[0:1], v[2:3] offset0:206 offset1:255
	v_sub_f32_e32 v0, v28, v9
	v_add_f32_e32 v1, v5, v29
	v_sub_f32_e32 v2, v37, v19
	v_add_f32_e32 v3, v11, v39
	;; [unrolled: 2-line block ×5, first 2 shown]
	ds_write_b64 v73, v[10:11] offset:7840
	ds_write_b64 v53, v[8:9] offset:10584
	;; [unrolled: 1-line block ×5, first 2 shown]
	s_waitcnt lgkmcnt(0)
	; wave barrier
	s_waitcnt lgkmcnt(0)
	v_accvgpr_read_b32 v0, a138
	global_load_dwordx4 v[96:99], v[120:121], off offset:2720
	v_mad_u64_u32 v[20:21], s[10:11], v0, 48, s[10:11]
	v_accvgpr_write_b32 a243, v48
	v_accvgpr_write_b32 a218, v47
	global_load_dwordx4 v[46:49], v[20:21], off offset:2688
	ds_read2_b64 v[6:9], v94 offset0:10 offset1:59
	global_load_dwordx4 v[240:243], v[20:21], off offset:2720
	global_load_dwordx4 v[216:219], v[20:21], off offset:2704
	v_accvgpr_write_b32 a219, v53
	v_accvgpr_write_b32 a221, v73
	v_accvgpr_write_b32 a211, v32
	v_accvgpr_mov_b32 a156, a145
	v_accvgpr_write_b32 a216, v31
	v_accvgpr_read_b32 v92, a136
	v_accvgpr_write_b32 a217, v40
	v_accvgpr_write_b32 a242, v41
	v_accvgpr_read_b32 v87, a141
	v_accvgpr_write_b32 a245, v54
	s_mov_b32 s10, 0x3d64c772
	s_mov_b32 s11, 0x3f4a47b2
	v_accvgpr_write_b32 a247, v74
	s_mov_b32 s17, s10
	s_waitcnt vmcnt(3) lgkmcnt(0)
	v_mul_f32_e32 v0, v7, v99
	v_fma_f32 v51, v6, v98, -v0
	v_mul_f32_e32 v50, v6, v99
	v_fmac_f32_e32 v50, v7, v98
	v_accvgpr_write_b32 a237, v99
	s_waitcnt vmcnt(2)
	v_accvgpr_write_b32 a233, v49
	s_waitcnt vmcnt(1)
	v_mul_f32_e32 v0, v9, v243
	v_mul_f32_e32 v52, v8, v243
	v_fma_f32 v53, v8, v242, -v0
	v_fmac_f32_e32 v52, v9, v242
	ds_read2_b64 v[8:11], v100 offset0:136 offset1:185
	v_accvgpr_write_b32 a232, v48
	v_accvgpr_write_b32 a231, v47
	;; [unrolled: 1-line block ×4, first 2 shown]
	s_waitcnt lgkmcnt(0)
	v_mul_f32_e32 v0, v9, v47
	v_fma_f32 v7, v8, v46, -v0
	v_mul_f32_e32 v6, v8, v47
	v_add_co_u32_e32 v8, vcc, s16, v20
	v_fmac_f32_e32 v6, v9, v46
	v_addc_co_u32_e32 v9, vcc, 0, v21, vcc
	global_load_dwordx4 v[70:73], v[8:9], off offset:944
	global_load_dwordx4 v[2:5], v[8:9], off offset:3296
	v_add_co_u32_e32 v8, vcc, s8, v20
	v_addc_co_u32_e32 v9, vcc, 0, v21, vcc
	s_movk_i32 s8, 0x1ce0
	v_add_co_u32_e32 v16, vcc, s8, v20
	v_addc_co_u32_e32 v17, vcc, 0, v21, vcc
	global_load_dwordx4 v[212:215], v[8:9], off offset:32
	global_load_dwordx4 v[224:227], v[8:9], off offset:16
	s_movk_i32 s8, 0x2610
	v_accvgpr_write_b32 a235, v97
	v_accvgpr_write_b32 a234, v96
	s_mov_b32 s16, s11
	s_waitcnt vmcnt(3)
	v_mul_f32_e32 v0, v11, v71
	v_mul_f32_e32 v12, v10, v71
	v_fma_f32 v13, v10, v70, -v0
	v_fmac_f32_e32 v12, v11, v70
	ds_read2_b64 v[8:11], v94 offset0:108 offset1:157
	global_load_dwordx4 v[22:25], v[16:17], off offset:32
	global_load_dwordx4 v[204:207], v[16:17], off offset:16
	v_accvgpr_write_b32 a229, v73
	v_accvgpr_write_b32 a228, v72
	;; [unrolled: 1-line block ×4, first 2 shown]
	s_waitcnt vmcnt(3) lgkmcnt(0)
	v_mul_f32_e32 v0, v9, v215
	v_fma_f32 v15, v8, v214, -v0
	v_mul_f32_e32 v14, v8, v215
	v_fmac_f32_e32 v14, v9, v214
	v_accvgpr_write_b32 a171, v5
	v_accvgpr_write_b32 a170, v4
	;; [unrolled: 1-line block ×4, first 2 shown]
	v_pk_add_f32 v[34:35], v[12:13], v[14:15] neg_lo:[0,1] neg_hi:[0,1]
	s_waitcnt vmcnt(1)
	v_mul_f32_e32 v0, v11, v25
	v_mul_f32_e32 v38, v10, v25
	v_fma_f32 v39, v10, v24, -v0
	v_fmac_f32_e32 v38, v11, v24
	ds_read2_b64 v[8:11], v76 offset0:106 offset1:155
	v_pk_mov_b32 v[90:91], v[24:25], v[24:25] op_sel:[0,1]
	v_pk_mov_b32 v[88:89], v[22:23], v[22:23] op_sel:[0,1]
	s_waitcnt lgkmcnt(0)
	v_mul_f32_e32 v0, v9, v3
	v_fma_f32 v37, v8, v2, -v0
	v_mul_f32_e32 v36, v8, v3
	v_add_co_u32_e32 v8, vcc, s15, v20
	v_fmac_f32_e32 v36, v9, v2
	v_addc_co_u32_e32 v9, vcc, 0, v21, vcc
	global_load_dwordx4 v[42:45], v[8:9], off offset:1552
	global_load_dwordx4 v[22:25], v[8:9], off offset:3904
	v_add_co_u32_e32 v8, vcc, s8, v20
	v_addc_co_u32_e32 v9, vcc, 0, v21, vcc
	global_load_dwordx4 v[26:29], v[8:9], off offset:32
	global_load_dwordx4 v[116:119], v[8:9], off offset:16
	s_movk_i32 s8, 0x2f40
	v_add_co_u32_e32 v16, vcc, s8, v20
	v_addc_co_u32_e32 v17, vcc, 0, v21, vcc
	s_movk_i32 s8, 0x3870
	s_waitcnt vmcnt(3)
	v_mul_f32_e32 v0, v11, v43
	v_mul_f32_e32 v32, v10, v43
	v_fma_f32 v33, v10, v42, -v0
	v_fmac_f32_e32 v32, v11, v42
	ds_read2_b64 v[8:11], v94 offset0:206 offset1:255
	s_waitcnt vmcnt(1)
	v_accvgpr_write_b32 a147, v29
	v_accvgpr_write_b32 a146, v28
	;; [unrolled: 1-line block ×4, first 2 shown]
	s_waitcnt lgkmcnt(0)
	v_mul_f32_e32 v0, v9, v29
	v_mul_f32_e32 v30, v8, v29
	v_fma_f32 v31, v8, v28, -v0
	v_fmac_f32_e32 v30, v9, v28
	global_load_dwordx4 v[26:29], v[16:17], off offset:32
	global_load_dwordx4 v[200:203], v[16:17], off offset:16
	global_load_dwordx4 v[228:231], v[120:121], off offset:2688
	global_load_dwordx4 v[232:235], v[120:121], off offset:2704
	v_accvgpr_read_b32 v94, a143
	ds_read2_b64 v[252:255], v87 offset0:100 offset1:149
	v_accvgpr_write_b32 a163, v25
	v_accvgpr_write_b32 a162, v24
	;; [unrolled: 1-line block ×4, first 2 shown]
	s_waitcnt vmcnt(3)
	v_mul_f32_e32 v0, v11, v29
	v_mul_f32_e32 v68, v10, v29
	v_fma_f32 v69, v10, v28, -v0
	v_fmac_f32_e32 v68, v11, v28
	ds_read2_b64 v[8:11], v95 offset0:76 offset1:125
	v_accvgpr_write_b32 a241, v29
	v_accvgpr_write_b32 a240, v28
	;; [unrolled: 1-line block ×4, first 2 shown]
	s_waitcnt lgkmcnt(0)
	v_mul_f32_e32 v0, v9, v23
	v_fma_f32 v63, v8, v22, -v0
	v_mul_f32_e32 v62, v8, v23
	v_add_co_u32_e32 v8, vcc, s14, v20
	v_fmac_f32_e32 v62, v9, v22
	v_addc_co_u32_e32 v9, vcc, 0, v21, vcc
	global_load_dwordx4 v[208:211], v[8:9], off offset:2160
	s_mov_b32 s14, 0x3eae86e6
	s_mov_b32 s15, 0xbf08b237
	s_waitcnt vmcnt(0)
	v_mul_f32_e32 v0, v11, v209
	v_mul_f32_e32 v60, v10, v209
	v_fma_f32 v61, v10, v208, -v0
	v_fmac_f32_e32 v60, v11, v208
	ds_read2_b64 v[8:11], v95 offset0:174 offset1:223
	v_accvgpr_read_b32 v95, a137
	v_accvgpr_write_b32 a139, v45
	v_accvgpr_write_b32 a138, v44
	;; [unrolled: 1-line block ×3, first 2 shown]
	s_waitcnt lgkmcnt(0)
	v_mul_f32_e32 v0, v9, v231
	v_mul_f32_e32 v246, v8, v231
	;; [unrolled: 1-line block ×3, first 2 shown]
	v_fma_f32 v248, v8, v230, -v0
	v_mul_f32_e32 v0, v11, v49
	v_fmac_f32_e32 v246, v9, v230
	v_fmac_f32_e32 v66, v11, v48
	v_fma_f32 v244, v10, v48, -v0
	ds_read2_b64 v[8:11], v95 offset0:54 offset1:103
	v_accvgpr_write_b32 a136, v42
	v_accvgpr_read_b32 v42, a142
	ds_read2_b64 v[236:239], v42 offset0:130 offset1:179
	s_waitcnt lgkmcnt(1)
	v_mul_f32_e32 v0, v9, v217
	v_fma_f32 v245, v8, v216, -v0
	v_mul_f32_e32 v67, v8, v217
	v_mul_f32_e32 v59, v10, v225
	;; [unrolled: 1-line block ×3, first 2 shown]
	v_fmac_f32_e32 v67, v9, v216
	v_fmac_f32_e32 v59, v11, v224
	v_fma_f32 v57, v10, v224, -v0
	ds_read2_b64 v[8:11], v92 offset0:16 offset1:65
	s_waitcnt lgkmcnt(1)
	v_mul_f32_e32 v16, v238, v96
	v_mul_f32_e32 v78, v238, v97
	v_fmac_f32_e32 v78, v239, v96
	s_waitcnt lgkmcnt(0)
	v_mul_f32_e32 v0, v9, v73
	v_mul_f32_e32 v58, v8, v73
	v_fma_f32 v56, v8, v72, -v0
	v_fmac_f32_e32 v58, v9, v72
	v_add_co_u32_e32 v72, vcc, s8, v20
	v_addc_co_u32_e32 v73, vcc, 0, v21, vcc
	global_load_dwordx4 v[120:123], v[72:73], off offset:16
	v_mul_f32_e32 v40, v10, v5
	v_mul_f32_e32 v0, v11, v5
	v_fmac_f32_e32 v40, v11, v4
	v_fma_f32 v76, v10, v4, -v0
	ds_read2_b64 v[8:11], v95 offset0:152 offset1:201
	v_mul_f32_e32 v4, v239, v97
	v_add_f32_e32 v239, v7, v53
	s_mov_b32 s8, 0xbf5ff5aa
	s_waitcnt lgkmcnt(0)
	v_mul_f32_e32 v0, v9, v205
	v_fma_f32 v77, v8, v204, -v0
	v_mul_f32_e32 v41, v8, v205
	v_mul_f32_e32 v29, v10, v117
	;; [unrolled: 1-line block ×3, first 2 shown]
	v_fmac_f32_e32 v41, v9, v204
	v_fmac_f32_e32 v29, v11, v116
	v_fma_f32 v85, v10, v116, -v0
	ds_read2_b64 v[8:11], v92 offset0:114 offset1:163
	v_accvgpr_read_b32 v92, a140
	s_waitcnt lgkmcnt(0)
	v_mul_f32_e32 v0, v9, v45
	v_fma_f32 v84, v8, v44, -v0
	v_mul_f32_e32 v0, v11, v25
	v_mul_f32_e32 v28, v8, v45
	v_mul_f32_e32 v46, v10, v25
	v_fma_f32 v128, v10, v24, -v0
	v_accvgpr_read_b32 v0, a254
	v_fmac_f32_e32 v28, v9, v44
	v_fmac_f32_e32 v46, v11, v24
	ds_read2_b64 v[8:11], v0 offset0:84 offset1:133
	s_waitcnt lgkmcnt(0)
	v_mul_f32_e32 v0, v11, v233
	v_fma_f32 v249, v10, v232, -v0
	v_mul_f32_e32 v247, v10, v233
	v_mul_f32_e32 v48, v8, v211
	;; [unrolled: 1-line block ×3, first 2 shown]
	v_fmac_f32_e32 v247, v11, v232
	v_fmac_f32_e32 v48, v9, v210
	v_fma_f32 v136, v8, v210, -v0
	ds_read2_b64 v[8:11], v94 offset0:122 offset1:171
	s_waitcnt lgkmcnt(0)
	v_mul_f32_e32 v0, v9, v201
	v_fma_f32 v129, v8, v200, -v0
	v_mul_f32_e32 v47, v8, v201
	v_fmac_f32_e32 v47, v9, v200
	s_waitcnt vmcnt(0)
	v_mul_f32_e32 v0, v11, v121
	v_mul_f32_e32 v49, v10, v121
	v_fma_f32 v137, v10, v120, -v0
	v_fmac_f32_e32 v49, v11, v120
	ds_read2_b64 v[8:11], v93 offset0:92 offset1:141
	s_waitcnt lgkmcnt(0)
	v_mul_f32_e32 v5, v9, v235
	v_mul_f32_e32 v17, v8, v234
	v_pk_add_f32 v[24:25], v[16:17], v[4:5] neg_lo:[0,1] neg_hi:[0,1]
	v_mul_f32_e32 v79, v8, v235
	v_pk_mov_b32 v[2:3], v[240:241], v[240:241] op_sel:[0,1]
	v_fmac_f32_e32 v79, v9, v234
	v_mul_f32_e32 v131, v10, v219
	v_mul_f32_e32 v9, v10, v218
	;; [unrolled: 1-line block ×4, first 2 shown]
	v_pk_mov_b32 v[4:5], v[242:243], v[242:243] op_sel:[0,1]
	ds_read2_b64 v[240:243], v100 offset0:38 offset1:87
	v_fmac_f32_e32 v131, v11, v218
	v_mul_f32_e32 v11, v11, v219
	v_pk_add_f32 v[250:251], v[8:9], v[10:11] neg_lo:[0,1] neg_hi:[0,1]
	v_pk_mov_b32 v[22:23], v[4:5], v[4:5] op_sel:[0,1]
	s_waitcnt lgkmcnt(0)
	v_mul_f32_e32 v0, v243, v229
	v_fma_f32 v9, v242, v228, -v0
	v_mul_f32_e32 v8, v242, v229
	v_fmac_f32_e32 v8, v243, v228
	v_pk_mov_b32 v[20:21], v[2:3], v[2:3] op_sel:[0,1]
	v_add_f32_e32 v243, v9, v51
	v_pk_add_f32 v[4:5], v[248:249], v[24:25]
	ds_read2_b64 v[16:19], v193 offset1:49
	v_add_f32_e32 v0, v4, v243
	v_mul_f32_e32 v130, v252, v3
	v_add_f32_e32 v10, v5, v0
	v_add_f32_e32 v3, v8, v50
	v_pk_add_f32 v[0:1], v[246:247], v[78:79]
	v_add_f32_e32 v2, v0, v3
	v_add_f32_e32 v11, v1, v2
	v_fmac_f32_e32 v130, v253, v20
	v_accvgpr_write_b32 a253, v23
	v_pk_add_f32 v[44:45], v[244:245], v[250:251]
	s_waitcnt lgkmcnt(0)
	v_add_f32_e32 v64, v10, v16
	v_add_f32_e32 v65, v11, v17
	v_accvgpr_write_b32 a252, v22
	v_accvgpr_write_b32 a251, v21
	;; [unrolled: 1-line block ×3, first 2 shown]
	v_add_f32_e32 v2, v44, v239
	v_add_f32_e32 v23, v6, v52
	v_pk_add_f32 v[54:55], v[66:67], v[130:131]
	v_pk_add_f32 v[16:17], v[8:9], v[50:51] neg_lo:[0,1] neg_hi:[0,1]
	v_pk_add_f32 v[52:53], v[6:7], v[52:53] neg_lo:[0,1] neg_hi:[0,1]
	v_add_f32_e32 v51, v13, v15
	v_add_f32_e32 v21, v12, v14
	v_mov_b32_e32 v6, v25
	v_mov_b32_e32 v7, v248
	;; [unrolled: 1-line block ×4, first 2 shown]
	v_add_f32_e32 v20, v45, v2
	v_add_f32_e32 v2, v54, v23
	v_pk_add_f32 v[6:7], v[6:7], v[12:13] neg_lo:[0,1] neg_hi:[0,1]
	v_mov_b32_e32 v12, v79
	v_mov_b32_e32 v13, v246
	;; [unrolled: 1-line block ×4, first 2 shown]
	v_add_f32_e32 v22, v55, v2
	v_pk_add_f32 v[12:13], v[12:13], v[14:15] neg_lo:[0,1] neg_hi:[0,1]
	v_mov_b32_e32 v2, v1
	v_sub_f32_e32 v9, v0, v3
	v_pk_add_f32 v[0:1], v[2:3], v[0:1] neg_lo:[0,1] neg_hi:[0,1]
	v_mov_b32_e32 v2, v12
	v_mov_b32_e32 v3, v6
	;; [unrolled: 1-line block ×4, first 2 shown]
	v_pk_add_f32 v[2:3], v[2:3], v[14:15]
	v_mov_b32_e32 v14, v17
	v_mov_b32_e32 v15, v6
	v_add_f32_e32 v96, v20, v18
	v_pk_add_f32 v[14:15], v[14:15], v[6:7] neg_lo:[0,1] neg_hi:[0,1]
	v_sub_f32_e32 v18, v7, v17
	v_mov_b32_e32 v6, v16
	v_mov_b32_e32 v7, v12
	v_pk_add_f32 v[6:7], v[6:7], v[12:13] neg_lo:[0,1] neg_hi:[0,1]
	v_add_f32_e32 v97, v22, v19
	v_sub_f32_e32 v19, v13, v16
	v_pk_mul_f32 v[12:13], v[14:15], s[14:15]
	v_pk_mul_f32 v[6:7], v[6:7], s[14:15]
	v_pk_add_f32 v[2:3], v[2:3], v[16:17]
	v_mov_b32_e32 v14, v7
	v_mov_b32_e32 v15, v13
	;; [unrolled: 1-line block ×5, first 2 shown]
	v_pk_add_f32 v[14:15], v[14:15], v[16:17]
	v_sub_f32_e32 v8, v4, v243
	v_pk_add_f32 v[4:5], v[242:243], v[4:5] neg_lo:[0,1] neg_hi:[0,1]
	v_fma_f32 v13, v18, s9, -v13
	v_fma_f32 v12, v18, s8, -v12
	;; [unrolled: 1-line block ×4, first 2 shown]
	v_pk_fma_f32 v[6:7], v[2:3], s[12:13], v[14:15] op_sel_hi:[1,0,1]
	v_pk_mul_f32 v[2:3], v[2:3], s[12:13] op_sel_hi:[1,0]
	v_add_f32_e32 v13, v3, v13
	v_add_f32_e32 v14, v2, v16
	;; [unrolled: 1-line block ×4, first 2 shown]
	v_mov_b32_e32 v17, v64
	v_pk_mul_f32 v[2:3], v[4:5], s[10:11]
	v_fmac_f32_e32 v17, 0xbf955555, v10
	v_mov_b32_e32 v10, v65
	v_pk_mul_f32 v[0:1], v[0:1], s[10:11]
	v_fma_f32 v4, v8, s6, -v2
	v_fmac_f32_e32 v10, 0xbf955555, v11
	v_add_f32_e32 v11, v4, v17
	v_fma_f32 v4, v9, s6, -v0
	v_fma_f32 v8, v8, s7, -v3
	v_add_f32_e32 v2, v2, v3
	v_fma_f32 v3, v9, s7, -v1
	v_add_f32_e32 v1, v0, v1
	v_add_f32_e32 v18, v4, v10
	;; [unrolled: 1-line block ×5, first 2 shown]
	v_sub_f32_e32 v4, v11, v14
	v_add_f32_e32 v5, v13, v18
	v_add_f32_e32 v12, v14, v11
	v_sub_f32_e32 v13, v18, v13
	v_add_f32_e32 v9, v3, v10
	v_add_f32_e32 v2, v16, v8
	v_sub_f32_e32 v14, v8, v16
	v_sub_f32_e32 v16, v0, v6
	v_add_f32_e32 v17, v7, v1
	v_pk_add_f32 v[18:19], v[0:1], v[6:7]
	v_pk_add_f32 v[0:1], v[0:1], v[6:7] neg_lo:[0,1] neg_hi:[0,1]
	v_sub_f32_e32 v3, v9, v15
	v_mov_b32_e32 v19, v1
	v_add_f32_e32 v15, v15, v9
	ds_write_b64 v193, v[18:19] offset:2744
	ds_write_b64 v193, v[2:3] offset:5488
	;; [unrolled: 1-line block ×6, first 2 shown]
	v_mov_b32_e32 v0, v251
	v_mov_b32_e32 v1, v244
	;; [unrolled: 1-line block ×4, first 2 shown]
	v_pk_add_f32 v[24:25], v[0:1], v[2:3] neg_lo:[0,1] neg_hi:[0,1]
	v_mov_b32_e32 v0, v131
	v_mov_b32_e32 v1, v66
	;; [unrolled: 1-line block ×4, first 2 shown]
	v_pk_add_f32 v[130:131], v[0:1], v[2:3] neg_lo:[0,1] neg_hi:[0,1]
	v_mov_b32_e32 v0, v130
	v_mov_b32_e32 v1, v24
	v_mov_b32_e32 v2, v131
	v_mov_b32_e32 v3, v25
	v_pk_add_f32 v[8:9], v[0:1], v[2:3]
	v_mov_b32_e32 v0, v53
	v_mov_b32_e32 v2, v52
	;; [unrolled: 1-line block ×4, first 2 shown]
	v_pk_add_f32 v[0:1], v[0:1], v[24:25] neg_lo:[0,1] neg_hi:[0,1]
	v_pk_add_f32 v[2:3], v[2:3], v[130:131] neg_lo:[0,1] neg_hi:[0,1]
	v_fmac_f32_e32 v86, 0xbf955555, v22
	v_mov_b32_e32 v238, v45
	v_mov_b32_e32 v22, v55
	v_pk_mul_f32 v[26:27], v[0:1], s[14:15]
	v_pk_mul_f32 v[78:79], v[2:3], s[14:15]
	ds_read_b64 v[66:67], v193 offset:18816
	ds_read2_b64 v[12:15], v193 offset0:98 offset1:147
	ds_read2_b64 v[4:7], v93 offset0:190 offset1:239
	;; [unrolled: 1-line block ×6, first 2 shown]
	ds_write2_b64 v193, v[64:65], v[96:97] offset1:49
	v_mov_b32_e32 v24, v96
	v_pk_add_f32 v[64:65], v[238:239], v[44:45] neg_lo:[0,1] neg_hi:[0,1]
	v_pk_add_f32 v[96:97], v[22:23], v[54:55] neg_lo:[0,1] neg_hi:[0,1]
	v_mov_b32_e32 v0, v79
	v_mov_b32_e32 v1, v27
	;; [unrolled: 1-line block ×4, first 2 shown]
	v_pk_mul_f32 v[64:65], v[64:65], s[10:11]
	v_pk_mul_f32 v[96:97], v[96:97], s[10:11]
	v_pk_add_f32 v[102:103], v[0:1], v[2:3]
	v_fmac_f32_e32 v24, 0xbf955555, v20
	v_add_f32_e32 v0, v64, v65
	v_add_f32_e32 v1, v96, v97
	v_pk_add_f32 v[42:43], v[8:9], v[52:53]
	v_add_f32_e32 v108, v0, v24
	v_add_f32_e32 v109, v1, v86
	v_pk_fma_f32 v[102:103], v[42:43], s[12:13], v[102:103] op_sel_hi:[1,0,1]
	v_pk_add_f32 v[8:9], v[108:109], v[102:103]
	v_pk_add_f32 v[74:75], v[108:109], v[102:103] neg_lo:[0,1] neg_hi:[0,1]
	v_sub_f32_e32 v114, v108, v102
	v_add_f32_e32 v115, v103, v109
	v_mov_b32_e32 v9, v75
	v_mul_f32_e32 v74, v254, v213
	v_mul_f32_e32 v102, v255, v213
	;; [unrolled: 1-line block ×3, first 2 shown]
	s_waitcnt lgkmcnt(5)
	v_mul_f32_e32 v109, v4, v226
	v_mul_f32_e32 v103, v5, v227
	;; [unrolled: 1-line block ×3, first 2 shown]
	v_fmac_f32_e32 v74, v255, v212
	v_pk_add_f32 v[102:103], v[108:109], v[102:103] neg_lo:[0,1] neg_hi:[0,1]
	v_fmac_f32_e32 v75, v5, v226
	v_mov_b32_e32 v108, v103
	v_mov_b32_e32 v109, v56
	v_pk_add_f32 v[254:255], v[56:57], v[102:103]
	v_mov_b32_e32 v56, v57
	v_mov_b32_e32 v57, v102
	;; [unrolled: 1-line block ×4, first 2 shown]
	v_pk_add_f32 v[102:103], v[58:59], v[74:75]
	v_mov_b32_e32 v58, v59
	v_mov_b32_e32 v59, v74
	v_pk_add_f32 v[56:57], v[108:109], v[56:57] neg_lo:[0,1] neg_hi:[0,1]
	v_pk_add_f32 v[58:59], v[0:1], v[58:59] neg_lo:[0,1] neg_hi:[0,1]
	v_mov_b32_e32 v0, v58
	v_mov_b32_e32 v1, v56
	;; [unrolled: 1-line block ×4, first 2 shown]
	v_pk_add_f32 v[74:75], v[0:1], v[74:75]
	v_mov_b32_e32 v0, v35
	v_mov_b32_e32 v108, v34
	;; [unrolled: 1-line block ×3, first 2 shown]
	v_pk_add_f32 v[0:1], v[0:1], v[56:57] neg_lo:[0,1] neg_hi:[0,1]
	v_pk_add_f32 v[108:109], v[108:109], v[58:59] neg_lo:[0,1] neg_hi:[0,1]
	v_pk_mul_f32 v[4:5], v[0:1], s[14:15]
	v_pk_mul_f32 v[10:11], v[108:109], s[14:15]
	v_add_f32_e32 v0, v254, v51
	v_mov_b32_e32 v70, v11
	v_mov_b32_e32 v71, v5
	;; [unrolled: 1-line block ×4, first 2 shown]
	v_add_f32_e32 v0, v255, v0
	v_pk_add_f32 v[70:71], v[70:71], v[108:109]
	v_add_f32_e32 v108, v0, v12
	v_mov_b32_e32 v22, v108
	v_fmac_f32_e32 v22, 0xbf955555, v0
	v_add_f32_e32 v0, v102, v21
	v_add_f32_e32 v0, v103, v0
	v_mov_b32_e32 v50, v255
	v_mov_b32_e32 v20, v103
	v_add_f32_e32 v109, v0, v13
	v_pk_add_f32 v[12:13], v[50:51], v[254:255] neg_lo:[0,1] neg_hi:[0,1]
	v_pk_add_f32 v[194:195], v[20:21], v[102:103] neg_lo:[0,1] neg_hi:[0,1]
	v_mov_b32_e32 v45, v109
	v_pk_mul_f32 v[12:13], v[12:13], s[10:11]
	v_pk_mul_f32 v[194:195], v[194:195], s[10:11]
	v_fmac_f32_e32 v45, 0xbf955555, v0
	v_add_f32_e32 v0, v12, v13
	v_add_f32_e32 v1, v194, v195
	v_pk_add_f32 v[74:75], v[74:75], v[34:35]
	v_add_f32_e32 v2, v0, v22
	v_add_f32_e32 v3, v1, v45
	v_pk_fma_f32 v[70:71], v[74:75], s[12:13], v[70:71] op_sel_hi:[1,0,1]
	v_sub_f32_e32 v138, v2, v70
	v_add_f32_e32 v139, v71, v3
	v_pk_add_f32 v[0:1], v[2:3], v[70:71]
	v_pk_add_f32 v[2:3], v[2:3], v[70:71] neg_lo:[0,1] neg_hi:[0,1]
	v_sub_f32_e32 v44, v44, v239
	v_mov_b32_e32 v1, v3
	v_sub_f32_e32 v23, v54, v23
	v_fma_f32 v2, v44, s7, -v65
	ds_write2_b64 v100, v[8:9], v[0:1] offset0:136 offset1:185
	v_sub_f32_e32 v25, v25, v53
	v_pk_mul_f32 v[0:1], v[42:43], s[12:13] op_sel_hi:[1,0]
	v_add_f32_e32 v42, v2, v24
	v_fma_f32 v2, v23, s7, -v97
	v_sub_f32_e32 v50, v131, v52
	v_sub_f32_e32 v51, v254, v51
	;; [unrolled: 1-line block ×5, first 2 shown]
	v_add_f32_e32 v43, v2, v86
	v_fma_f32 v2, v25, s8, -v26
	v_add_f32_e32 v26, v1, v2
	v_fma_f32 v2, v50, s8, -v78
	v_pk_mul_f32 v[8:9], v[74:75], s[12:13] op_sel_hi:[1,0]
	v_fma_f32 v13, v51, s7, -v13
	v_fma_f32 v20, v52, s7, -v195
	;; [unrolled: 1-line block ×4, first 2 shown]
	v_add_f32_e32 v53, v0, v2
	v_add_f32_e32 v13, v13, v22
	;; [unrolled: 1-line block ×6, first 2 shown]
	v_sub_f32_e32 v3, v43, v26
	v_add_f32_e32 v20, v10, v13
	v_sub_f32_e32 v21, v54, v4
	v_accvgpr_read_b32 v254, a157
	ds_write2_b64 v254, v[2:3], v[20:21] offset0:95 offset1:144
	v_fma_f32 v20, v25, s9, -v27
	v_fma_f32 v21, v50, s9, -v79
	;; [unrolled: 1-line block ×4, first 2 shown]
	v_add_f32_e32 v20, v1, v20
	v_add_f32_e32 v21, v0, v21
	v_fma_f32 v0, v51, s6, -v12
	v_fma_f32 v1, v52, s6, -v194
	;; [unrolled: 1-line block ×4, first 2 shown]
	v_add_f32_e32 v5, v9, v5
	v_add_f32_e32 v8, v8, v11
	v_add_f32_e32 v9, v2, v24
	v_add_f32_e32 v11, v3, v86
	v_add_f32_e32 v12, v0, v22
	v_add_f32_e32 v22, v1, v45
	v_sub_f32_e32 v0, v9, v21
	v_add_f32_e32 v1, v20, v11
	v_sub_f32_e32 v2, v12, v8
	v_add_f32_e32 v3, v5, v22
	ds_write2_b64 v95, v[0:1], v[2:3] offset0:54 offset1:103
	v_add_f32_e32 v0, v21, v9
	v_sub_f32_e32 v1, v11, v20
	v_add_f32_e32 v2, v8, v12
	v_sub_f32_e32 v3, v22, v5
	ds_write2_b64 v93, v[0:1], v[2:3] offset0:141 offset1:190
	v_sub_f32_e32 v0, v42, v53
	v_add_f32_e32 v1, v26, v43
	v_sub_f32_e32 v2, v13, v10
	v_add_f32_e32 v3, v4, v54
	ds_write2_b64 v87, v[0:1], v[2:3] offset0:100 offset1:149
	v_mul_f32_e32 v1, v6, v207
	v_mul_f32_e32 v3, v6, v206
	;; [unrolled: 1-line block ×3, first 2 shown]
	s_waitcnt lgkmcnt(9)
	v_mul_f32_e32 v4, v17, v89
	v_mul_f32_e32 v2, v16, v88
	;; [unrolled: 1-line block ×3, first 2 shown]
	v_fmac_f32_e32 v1, v7, v206
	v_pk_add_f32 v[12:13], v[2:3], v[4:5] neg_lo:[0,1] neg_hi:[0,1]
	v_fmac_f32_e32 v0, v17, v88
	v_add_f32_e32 v3, v37, v39
	v_pk_add_f32 v[4:5], v[76:77], v[12:13]
	v_add_f32_e32 v9, v36, v38
	v_pk_add_f32 v[10:11], v[40:41], v[0:1]
	v_add_f32_e32 v2, v4, v3
	v_add_f32_e32 v6, v10, v9
	;; [unrolled: 1-line block ×6, first 2 shown]
	v_mov_b32_e32 v14, v13
	v_mov_b32_e32 v15, v76
	;; [unrolled: 1-line block ×4, first 2 shown]
	v_pk_add_f32 v[16:17], v[14:15], v[16:17] neg_lo:[0,1] neg_hi:[0,1]
	v_mov_b32_e32 v12, v1
	v_mov_b32_e32 v13, v40
	;; [unrolled: 1-line block ×4, first 2 shown]
	v_add_f32_e32 v27, v33, v31
	v_add_f32_e32 v25, v32, v30
	v_pk_add_f32 v[6:7], v[32:33], v[30:31] neg_lo:[0,1] neg_hi:[0,1]
	v_pk_add_f32 v[30:31], v[12:13], v[14:15] neg_lo:[0,1] neg_hi:[0,1]
	;; [unrolled: 1-line block ×3, first 2 shown]
	v_mov_b32_e32 v0, v30
	v_mov_b32_e32 v1, v16
	;; [unrolled: 1-line block ×4, first 2 shown]
	v_pk_add_f32 v[0:1], v[0:1], v[12:13]
	v_mov_b32_e32 v12, v21
	v_mov_b32_e32 v13, v16
	;; [unrolled: 1-line block ×4, first 2 shown]
	v_pk_add_f32 v[12:13], v[12:13], v[16:17] neg_lo:[0,1] neg_hi:[0,1]
	v_pk_add_f32 v[14:15], v[14:15], v[30:31] neg_lo:[0,1] neg_hi:[0,1]
	v_pk_mul_f32 v[12:13], v[12:13], s[14:15]
	v_pk_mul_f32 v[14:15], v[14:15], s[14:15]
	v_mov_b32_e32 v16, v22
	v_mov_b32_e32 v30, v23
	;; [unrolled: 1-line block ×6, first 2 shown]
	v_fmac_f32_e32 v16, 0xbf955555, v2
	v_fmac_f32_e32 v30, 0xbf955555, v8
	v_mov_b32_e32 v2, v5
	v_mov_b32_e32 v8, v11
	v_pk_add_f32 v[32:33], v[32:33], v[34:35]
	ds_write2_b64 v193, v[108:109], v[22:23] offset0:98 offset1:147
	v_pk_add_f32 v[22:23], v[2:3], v[4:5] neg_lo:[0,1] neg_hi:[0,1]
	v_pk_add_f32 v[34:35], v[8:9], v[10:11] neg_lo:[0,1] neg_hi:[0,1]
	v_pk_mul_f32 v[22:23], v[22:23], s[10:11]
	v_pk_mul_f32 v[34:35], v[34:35], s[10:11]
	v_add_f32_e32 v2, v22, v23
	v_add_f32_e32 v5, v34, v35
	v_pk_add_f32 v[38:39], v[0:1], v[20:21]
	v_add_f32_e32 v36, v2, v16
	v_add_f32_e32 v37, v5, v30
	v_pk_fma_f32 v[0:1], v[38:39], s[12:13], v[32:33] op_sel_hi:[1,0,1]
	v_accvgpr_read_b32 v42, a144
	v_sub_f32_e32 v32, v36, v0
	v_add_f32_e32 v33, v1, v37
	v_pk_add_f32 v[40:41], v[36:37], v[0:1]
	v_pk_add_f32 v[0:1], v[36:37], v[0:1] neg_lo:[0,1] neg_hi:[0,1]
	v_accvgpr_read_b32 v43, a145
	v_mul_f32_e32 v0, v18, v43
	v_fmac_f32_e32 v0, v19, v42
	v_mul_f32_e32 v36, v19, v43
	v_mul_f32_e32 v18, v18, v42
	s_waitcnt lgkmcnt(8)
	v_mul_f32_e32 v19, v250, v118
	v_mul_f32_e32 v37, v251, v119
	v_mov_b32_e32 v41, v1
	v_accvgpr_read_b32 v44, a146
	v_accvgpr_read_b32 v45, a147
	v_pk_add_f32 v[18:19], v[18:19], v[36:37] neg_lo:[0,1] neg_hi:[0,1]
	v_mul_f32_e32 v1, v250, v119
	v_mov_b32_e32 v36, v19
	v_mov_b32_e32 v37, v84
	;; [unrolled: 1-line block ×4, first 2 shown]
	v_fmac_f32_e32 v1, v251, v118
	v_pk_add_f32 v[42:43], v[84:85], v[18:19]
	v_pk_add_f32 v[18:19], v[36:37], v[44:45] neg_lo:[0,1] neg_hi:[0,1]
	v_mov_b32_e32 v36, v1
	v_mov_b32_e32 v37, v28
	v_pk_add_f32 v[44:45], v[28:29], v[0:1]
	v_mov_b32_e32 v28, v29
	v_mov_b32_e32 v29, v0
	v_pk_add_f32 v[28:29], v[36:37], v[28:29] neg_lo:[0,1] neg_hi:[0,1]
	v_mov_b32_e32 v0, v28
	v_mov_b32_e32 v1, v18
	;; [unrolled: 1-line block ×4, first 2 shown]
	v_pk_add_f32 v[36:37], v[0:1], v[36:37]
	v_mov_b32_e32 v0, v7
	v_mov_b32_e32 v50, v6
	;; [unrolled: 1-line block ×3, first 2 shown]
	v_pk_add_f32 v[0:1], v[0:1], v[18:19] neg_lo:[0,1] neg_hi:[0,1]
	v_pk_add_f32 v[50:51], v[50:51], v[28:29] neg_lo:[0,1] neg_hi:[0,1]
	v_pk_mul_f32 v[52:53], v[0:1], s[14:15]
	v_pk_mul_f32 v[50:51], v[50:51], s[14:15]
	v_mov_b32_e32 v0, v51
	v_mov_b32_e32 v1, v53
	;; [unrolled: 1-line block ×4, first 2 shown]
	v_pk_add_f32 v[54:55], v[0:1], v[54:55]
	v_add_f32_e32 v0, v42, v27
	v_add_f32_e32 v1, v43, v0
	;; [unrolled: 1-line block ×3, first 2 shown]
	v_mov_b32_e32 v11, v0
	v_fmac_f32_e32 v11, 0xbf955555, v1
	v_add_f32_e32 v1, v44, v25
	v_mov_b32_e32 v26, v43
	v_add_f32_e32 v2, v45, v1
	v_mov_b32_e32 v24, v45
	v_pk_add_f32 v[56:57], v[26:27], v[42:43] neg_lo:[0,1] neg_hi:[0,1]
	v_add_f32_e32 v1, v2, v247
	v_pk_mul_f32 v[56:57], v[56:57], s[10:11]
	v_pk_add_f32 v[58:59], v[24:25], v[44:45] neg_lo:[0,1] neg_hi:[0,1]
	v_sub_f32_e32 v24, v4, v3
	v_sub_f32_e32 v17, v17, v21
	;; [unrolled: 1-line block ×3, first 2 shown]
	v_mov_b32_e32 v18, v1
	v_pk_mul_f32 v[58:59], v[58:59], s[10:11]
	v_sub_f32_e32 v10, v10, v9
	v_sub_f32_e32 v25, v44, v25
	v_fma_f32 v4, v24, s7, -v23
	v_fma_f32 v8, v21, s7, -v57
	v_fmac_f32_e32 v18, 0xbf955555, v2
	v_add_f32_e32 v2, v56, v57
	v_pk_add_f32 v[36:37], v[36:37], v[6:7]
	v_sub_f32_e32 v19, v19, v7
	v_add_f32_e32 v23, v4, v16
	v_fma_f32 v4, v10, s7, -v35
	v_add_f32_e32 v28, v8, v11
	v_fma_f32 v8, v25, s7, -v59
	v_add_f32_e32 v64, v2, v11
	v_sub_f32_e32 v20, v31, v20
	v_sub_f32_e32 v26, v29, v6
	v_pk_mul_f32 v[2:3], v[38:39], s[12:13] op_sel_hi:[1,0]
	v_add_f32_e32 v27, v4, v30
	v_fma_f32 v4, v17, s8, -v12
	v_pk_mul_f32 v[6:7], v[36:37], s[12:13] op_sel_hi:[1,0]
	v_add_f32_e32 v29, v8, v18
	v_fma_f32 v8, v19, s8, -v52
	v_add_f32_e32 v5, v58, v59
	v_add_f32_e32 v12, v3, v4
	v_fma_f32 v4, v20, s8, -v14
	v_add_f32_e32 v31, v7, v8
	v_fma_f32 v8, v26, s8, -v50
	v_add_f32_e32 v65, v5, v18
	v_pk_fma_f32 v[54:55], v[36:37], s[12:13], v[54:55] op_sel_hi:[1,0,1]
	v_add_f32_e32 v14, v2, v4
	v_add_f32_e32 v35, v6, v8
	v_sub_f32_e32 v70, v64, v54
	v_add_f32_e32 v71, v55, v65
	v_pk_add_f32 v[74:75], v[64:65], v[54:55]
	v_pk_add_f32 v[54:55], v[64:65], v[54:55] neg_lo:[0,1] neg_hi:[0,1]
	v_add_f32_e32 v4, v14, v23
	v_sub_f32_e32 v5, v27, v12
	v_add_f32_e32 v8, v35, v28
	v_sub_f32_e32 v9, v29, v31
	v_accvgpr_read_b32 v65, a101
	ds_write2_b64 v65, v[4:5], v[8:9] offset0:65 offset1:114
	v_fma_f32 v8, v17, s9, -v13
	v_fma_f32 v9, v20, s9, -v15
	;; [unrolled: 1-line block ×4, first 2 shown]
	v_add_f32_e32 v8, v3, v8
	v_add_f32_e32 v9, v2, v9
	v_fma_f32 v2, v21, s6, -v56
	v_fma_f32 v3, v25, s6, -v58
	;; [unrolled: 1-line block ×4, first 2 shown]
	v_add_f32_e32 v7, v7, v10
	v_add_f32_e32 v6, v6, v13
	;; [unrolled: 1-line block ×6, first 2 shown]
	v_accvgpr_read_b32 v130, a142
	v_accvgpr_read_b32 v78, a141
	v_accvgpr_write_b32 a143, v91
	v_sub_f32_e32 v2, v10, v9
	v_add_f32_e32 v3, v8, v13
	v_sub_f32_e32 v4, v11, v6
	v_add_f32_e32 v5, v7, v15
	v_accvgpr_write_b32 a142, v90
	v_accvgpr_write_b32 a141, v89
	;; [unrolled: 1-line block ×3, first 2 shown]
	ds_write2_b64 v95, v[2:3], v[4:5] offset0:152 offset1:201
	v_add_f32_e32 v2, v9, v10
	v_sub_f32_e32 v3, v13, v8
	v_add_f32_e32 v4, v6, v11
	v_sub_f32_e32 v5, v15, v7
	v_accvgpr_read_b32 v90, a1
	v_accvgpr_read_b32 v86, a156
	v_mov_b32_e32 v75, v55
	ds_write2_b64 v90, v[2:3], v[4:5] offset0:111 offset1:160
	v_sub_f32_e32 v2, v23, v14
	v_add_f32_e32 v3, v12, v27
	v_sub_f32_e32 v4, v28, v35
	v_add_f32_e32 v5, v31, v29
	ds_write2_b64 v86, v[114:115], v[138:139] offset0:59 offset1:108
	ds_write2_b64 v101, v[40:41], v[74:75] offset0:106 offset1:155
	;; [unrolled: 1-line block ×4, first 2 shown]
	v_mul_f32_e32 v17, v236, v123
	v_fmac_f32_e32 v17, v237, v122
	v_mul_f32_e32 v19, v236, v122
	v_mul_f32_e32 v21, v237, v123
	global_load_dwordx4 v[236:239], v[72:73], off offset:32
	v_mov_b32_e32 v103, v100
	v_mov_b32_e32 v84, v101
	v_accvgpr_read_b32 v98, a238
	v_accvgpr_read_b32 v99, a239
	v_mul_f32_e32 v3, v252, v202
	v_mul_f32_e32 v5, v253, v203
	s_waitcnt lgkmcnt(14)
	v_mul_f32_e32 v4, v243, v99
	v_mul_f32_e32 v2, v242, v98
	;; [unrolled: 1-line block ×3, first 2 shown]
	v_pk_add_f32 v[12:13], v[2:3], v[4:5] neg_lo:[0,1] neg_hi:[0,1]
	v_mul_f32_e32 v10, v242, v99
	v_fmac_f32_e32 v11, v253, v202
	v_fmac_f32_e32 v10, v243, v98
	v_mov_b32_e32 v34, v13
	v_mov_b32_e32 v35, v128
	;; [unrolled: 1-line block ×4, first 2 shown]
	v_add_f32_e32 v3, v63, v69
	v_pk_add_f32 v[4:5], v[128:129], v[12:13]
	v_add_f32_e32 v7, v62, v68
	v_pk_add_f32 v[8:9], v[46:47], v[10:11]
	v_pk_add_f32 v[12:13], v[34:35], v[36:37] neg_lo:[0,1] neg_hi:[0,1]
	v_mov_b32_e32 v34, v11
	v_mov_b32_e32 v35, v46
	;; [unrolled: 1-line block ×4, first 2 shown]
	v_add_f32_e32 v2, v4, v3
	v_add_f32_e32 v6, v8, v7
	v_pk_add_f32 v[10:11], v[34:35], v[36:37] neg_lo:[0,1] neg_hi:[0,1]
	v_add_f32_e32 v2, v5, v2
	v_add_f32_e32 v6, v9, v6
	v_pk_add_f32 v[32:33], v[62:63], v[68:69] neg_lo:[0,1] neg_hi:[0,1]
	v_mov_b32_e32 v34, v10
	v_mov_b32_e32 v35, v12
	;; [unrolled: 1-line block ×4, first 2 shown]
	v_add_f32_e32 v14, v2, v248
	v_add_f32_e32 v15, v6, v249
	v_pk_add_f32 v[34:35], v[34:35], v[36:37]
	v_mov_b32_e32 v36, v33
	v_mov_b32_e32 v37, v12
	;; [unrolled: 1-line block ×4, first 2 shown]
	v_pk_add_f32 v[36:37], v[36:37], v[12:13] neg_lo:[0,1] neg_hi:[0,1]
	v_pk_add_f32 v[38:39], v[38:39], v[10:11] neg_lo:[0,1] neg_hi:[0,1]
	v_mov_b32_e32 v10, v14
	v_mov_b32_e32 v12, v15
	v_fmac_f32_e32 v10, 0xbf955555, v2
	v_fmac_f32_e32 v12, 0xbf955555, v6
	v_mov_b32_e32 v2, v5
	v_mov_b32_e32 v6, v9
	v_pk_mul_f32 v[36:37], v[36:37], s[14:15]
	v_pk_mul_f32 v[38:39], v[38:39], s[14:15]
	ds_write2_b64 v193, v[0:1], v[14:15] offset0:196 offset1:245
	v_pk_add_f32 v[0:1], v[2:3], v[4:5] neg_lo:[0,1] neg_hi:[0,1]
	v_pk_add_f32 v[14:15], v[6:7], v[8:9] neg_lo:[0,1] neg_hi:[0,1]
	v_mov_b32_e32 v40, v39
	v_mov_b32_e32 v41, v37
	;; [unrolled: 1-line block ×4, first 2 shown]
	v_pk_mul_f32 v[0:1], v[0:1], s[10:11]
	v_pk_mul_f32 v[14:15], v[14:15], s[10:11]
	v_pk_add_f32 v[40:41], v[40:41], v[42:43]
	v_add_f32_e32 v2, v0, v1
	v_add_f32_e32 v5, v14, v15
	v_pk_add_f32 v[34:35], v[34:35], v[32:33]
	v_add_f32_e32 v42, v2, v10
	v_add_f32_e32 v43, v5, v12
	v_pk_fma_f32 v[40:41], v[34:35], s[12:13], v[40:41] op_sel_hi:[1,0,1]
	v_sub_f32_e32 v44, v42, v40
	v_add_f32_e32 v45, v41, v43
	v_pk_add_f32 v[46:47], v[42:43], v[40:41]
	v_pk_add_f32 v[40:41], v[42:43], v[40:41] neg_lo:[0,1] neg_hi:[0,1]
	v_mov_b32_e32 v47, v41
	v_mov_b32_e32 v41, v136
	;; [unrolled: 1-line block ×3, first 2 shown]
	v_sub_f32_e32 v13, v13, v33
	v_sub_f32_e32 v11, v11, v32
	v_accvgpr_read_b32 v91, a100
	s_waitcnt vmcnt(0)
	v_mul_f32_e32 v20, v245, v237
	v_mul_f32_e32 v18, v244, v236
	;; [unrolled: 1-line block ×3, first 2 shown]
	v_pk_add_f32 v[18:19], v[18:19], v[20:21] neg_lo:[0,1] neg_hi:[0,1]
	v_fmac_f32_e32 v16, v245, v236
	v_mul_f32_e32 v22, v67, v239
	v_mov_b32_e32 v40, v19
	v_mov_b32_e32 v43, v18
	v_fma_f32 v23, v66, v238, -v22
	v_mul_f32_e32 v22, v66, v239
	v_pk_add_f32 v[24:25], v[136:137], v[18:19]
	v_pk_add_f32 v[18:19], v[40:41], v[42:43] neg_lo:[0,1] neg_hi:[0,1]
	v_mov_b32_e32 v40, v17
	v_mov_b32_e32 v41, v48
	;; [unrolled: 1-line block ×4, first 2 shown]
	v_fmac_f32_e32 v22, v67, v238
	v_add_f32_e32 v21, v61, v23
	v_pk_add_f32 v[28:29], v[48:49], v[16:17]
	v_pk_add_f32 v[16:17], v[40:41], v[42:43] neg_lo:[0,1] neg_hi:[0,1]
	v_add_f32_e32 v20, v24, v21
	v_add_f32_e32 v27, v60, v22
	v_pk_add_f32 v[22:23], v[60:61], v[22:23] neg_lo:[0,1] neg_hi:[0,1]
	v_mov_b32_e32 v40, v16
	v_mov_b32_e32 v41, v18
	;; [unrolled: 1-line block ×4, first 2 shown]
	v_add_f32_e32 v20, v25, v20
	v_pk_add_f32 v[40:41], v[40:41], v[42:43]
	v_mov_b32_e32 v42, v23
	v_mov_b32_e32 v43, v18
	v_mov_b32_e32 v48, v22
	v_mov_b32_e32 v49, v16
	v_add_f32_e32 v30, v20, v240
	v_pk_add_f32 v[42:43], v[42:43], v[18:19] neg_lo:[0,1] neg_hi:[0,1]
	v_pk_add_f32 v[48:49], v[48:49], v[16:17] neg_lo:[0,1] neg_hi:[0,1]
	v_pk_mul_f32 v[42:43], v[42:43], s[14:15]
	v_pk_mul_f32 v[48:49], v[48:49], s[14:15]
	v_mov_b32_e32 v16, v30
	v_add_f32_e32 v26, v28, v27
	v_mov_b32_e32 v50, v49
	v_mov_b32_e32 v51, v43
	;; [unrolled: 1-line block ×4, first 2 shown]
	v_fmac_f32_e32 v16, 0xbf955555, v20
	v_mov_b32_e32 v20, v25
	v_add_f32_e32 v26, v29, v26
	v_pk_add_f32 v[50:51], v[50:51], v[52:53]
	v_pk_add_f32 v[52:53], v[20:21], v[24:25] neg_lo:[0,1] neg_hi:[0,1]
	v_sub_f32_e32 v20, v4, v3
	v_add_f32_e32 v31, v26, v241
	v_pk_mul_f32 v[52:53], v[52:53], s[10:11]
	v_sub_f32_e32 v25, v8, v7
	v_fma_f32 v1, v20, s7, -v1
	v_mov_b32_e32 v18, v31
	v_add_f32_e32 v2, v52, v53
	v_pk_add_f32 v[40:41], v[40:41], v[22:23]
	v_sub_f32_e32 v17, v17, v22
	v_add_f32_e32 v22, v1, v10
	v_fma_f32 v1, v25, s7, -v15
	v_fmac_f32_e32 v18, 0xbf955555, v26
	v_mov_b32_e32 v26, v29
	v_add_f32_e32 v56, v2, v16
	v_pk_mul_f32 v[2:3], v[34:35], s[12:13] op_sel_hi:[1,0]
	v_add_f32_e32 v15, v1, v12
	v_fma_f32 v1, v13, s8, -v36
	v_pk_add_f32 v[54:55], v[26:27], v[28:29] neg_lo:[0,1] neg_hi:[0,1]
	v_sub_f32_e32 v21, v24, v21
	v_sub_f32_e32 v19, v19, v23
	v_add_f32_e32 v23, v3, v1
	v_fma_f32 v1, v11, s8, -v38
	v_pk_mul_f32 v[54:55], v[54:55], s[10:11]
	v_sub_f32_e32 v24, v28, v27
	v_add_f32_e32 v26, v2, v1
	v_fma_f32 v1, v21, s7, -v53
	v_add_f32_e32 v27, v1, v16
	v_fma_f32 v1, v24, s7, -v55
	v_pk_mul_f32 v[6:7], v[40:41], s[12:13] op_sel_hi:[1,0]
	v_add_f32_e32 v28, v1, v18
	v_fma_f32 v1, v19, s8, -v42
	v_add_f32_e32 v29, v7, v1
	v_fma_f32 v1, v17, s8, -v48
	v_add_f32_e32 v5, v54, v55
	v_add_f32_e32 v32, v6, v1
	;; [unrolled: 1-line block ×4, first 2 shown]
	v_sub_f32_e32 v5, v15, v23
	v_add_f32_e32 v8, v32, v27
	v_sub_f32_e32 v9, v28, v29
	ds_write2_b64 v65, v[4:5], v[8:9] offset0:163 offset1:212
	v_fma_f32 v4, v13, s9, -v37
	v_fma_f32 v5, v11, s9, -v39
	;; [unrolled: 1-line block ×4, first 2 shown]
	v_add_f32_e32 v4, v3, v4
	v_add_f32_e32 v5, v2, v5
	v_fma_f32 v2, v21, s6, -v52
	v_fma_f32 v3, v24, s6, -v54
	;; [unrolled: 1-line block ×4, first 2 shown]
	v_add_f32_e32 v7, v7, v8
	v_add_f32_e32 v6, v6, v9
	;; [unrolled: 1-line block ×6, first 2 shown]
	v_sub_f32_e32 v0, v8, v5
	v_add_f32_e32 v1, v4, v9
	v_sub_f32_e32 v2, v10, v6
	v_add_f32_e32 v3, v7, v11
	ds_write2_b64 v94, v[0:1], v[2:3] offset0:122 offset1:171
	v_add_f32_e32 v0, v5, v8
	v_sub_f32_e32 v1, v9, v4
	v_add_f32_e32 v2, v6, v10
	v_sub_f32_e32 v3, v11, v7
	v_pk_fma_f32 v[50:51], v[40:41], s[12:13], v[50:51] op_sel_hi:[1,0,1]
	ds_write2_b64 v130, v[0:1], v[2:3] offset0:81 offset1:130
	v_sub_f32_e32 v0, v22, v26
	v_add_f32_e32 v1, v23, v15
	v_sub_f32_e32 v2, v27, v32
	v_add_f32_e32 v3, v29, v28
	;; [unrolled: 2-line block ×3, first 2 shown]
	v_pk_add_f32 v[60:61], v[56:57], v[50:51]
	v_pk_add_f32 v[50:51], v[56:57], v[50:51] neg_lo:[0,1] neg_hi:[0,1]
	ds_write2_b64 v92, v[0:1], v[2:3] offset0:168 offset1:217
	v_accvgpr_read_b32 v0, a248
	v_mov_b32_e32 v61, v51
	v_accvgpr_read_b32 v241, a255
	v_accvgpr_read_b32 v1, a249
	ds_write2_b64 v241, v[46:47], v[60:61] offset0:76 offset1:125
	ds_write2_b64 v91, v[44:45], v[58:59] offset0:127 offset1:176
	ds_write_b64 v193, v[30:31] offset:2352
	s_waitcnt lgkmcnt(0)
	; wave barrier
	s_waitcnt lgkmcnt(0)
	global_load_dwordx2 v[10:11], v[0:1], off offset:2824
	s_movk_i32 s12, 0x4b08
	v_accvgpr_read_b32 v44, a206
	v_add_co_u32_e32 v0, vcc, s12, v44
	v_accvgpr_read_b32 v45, a207
	v_addc_co_u32_e32 v1, vcc, 0, v45, vcc
	global_load_dwordx2 v[12:13], v[0:1], off offset:392
	global_load_dwordx2 v[4:5], v[0:1], off offset:784
	;; [unrolled: 1-line block ×3, first 2 shown]
	ds_read2_b64 v[6:9], v193 offset1:49
	s_movk_i32 s12, 0x6000
	v_mov_b32_e32 v79, v93
	v_accvgpr_read_b32 v242, a101
	v_mov_b32_e32 v98, v79
	v_mov_b32_e32 v88, v78
	v_accvgpr_read_b32 v100, a240
	v_mov_b32_e32 v100, v86
	;; [unrolled: 3-line block ×3, first 2 shown]
	v_accvgpr_read_b32 v89, a206
	v_mov_b32_e32 v93, v94
	v_accvgpr_read_b32 v94, a207
	v_mov_b32_e32 v99, v130
	v_accvgpr_write_b32 a100, v90
	v_accvgpr_write_b32 a206, v88
	;; [unrolled: 1-line block ×3, first 2 shown]
	v_accvgpr_mov_b32 a159, a147
	v_accvgpr_mov_b32 a158, a146
	;; [unrolled: 1-line block ×8, first 2 shown]
	v_accvgpr_write_b32 a2, v91
	v_accvgpr_write_b32 a238, v93
	;; [unrolled: 1-line block ×5, first 2 shown]
	s_mov_b32 s14, 0xbeae86e6
	s_mov_b32 s15, 0x3f08b237
	;; [unrolled: 1-line block ×4, first 2 shown]
	s_waitcnt vmcnt(3) lgkmcnt(0)
	v_mul_f32_e32 v14, v7, v11
	v_mul_f32_e32 v15, v6, v11
	v_fma_f32 v14, v6, v10, -v14
	v_fmac_f32_e32 v15, v7, v10
	v_add_co_u32_e32 v10, vcc, s12, v44
	s_waitcnt vmcnt(2)
	v_mul_f32_e32 v6, v9, v13
	v_mul_f32_e32 v7, v8, v13
	ds_write_b64 v193, v[14:15]
	v_addc_co_u32_e32 v11, vcc, 0, v45, vcc
	v_fma_f32 v6, v8, v12, -v6
	v_fmac_f32_e32 v7, v9, v12
	global_load_dwordx2 v[12:13], v[10:11], off offset:120
	global_load_dwordx2 v[18:19], v[0:1], off offset:3920
	ds_read2_b64 v[14:17], v241 offset0:174 offset1:223
	s_movk_i32 s12, 0x7000
	v_add_co_u32_e32 v30, vcc, s12, v44
	v_addc_co_u32_e32 v31, vcc, 0, v45, vcc
	s_mov_b32 s12, 0x8000
	s_waitcnt vmcnt(1) lgkmcnt(0)
	v_mul_f32_e32 v8, v15, v13
	v_mul_f32_e32 v9, v14, v13
	v_fma_f32 v8, v14, v12, -v8
	v_fmac_f32_e32 v9, v15, v12
	global_load_dwordx2 v[24:25], v[10:11], off offset:512
	global_load_dwordx2 v[22:23], v[10:11], off offset:904
	;; [unrolled: 1-line block ×4, first 2 shown]
	s_waitcnt vmcnt(3)
	v_mul_f32_e32 v12, v17, v25
	v_mul_f32_e32 v13, v16, v25
	v_fma_f32 v12, v16, v24, -v12
	v_fmac_f32_e32 v13, v17, v24
	global_load_dwordx2 v[32:33], v[30:31], off offset:1512
	global_load_dwordx2 v[36:37], v[30:31], off offset:1904
	;; [unrolled: 1-line block ×4, first 2 shown]
	ds_read2_b64 v[26:29], v79 offset0:92 offset1:141
	s_waitcnt vmcnt(3) lgkmcnt(0)
	v_mul_f32_e32 v24, v27, v33
	v_mul_f32_e32 v25, v26, v33
	v_fma_f32 v24, v26, v32, -v24
	v_fmac_f32_e32 v25, v27, v32
	s_waitcnt vmcnt(2)
	v_mul_f32_e32 v26, v29, v37
	v_mul_f32_e32 v27, v28, v37
	v_fma_f32 v26, v28, v36, -v26
	v_fmac_f32_e32 v27, v29, v36
	v_add_co_u32_e32 v36, vcc, s12, v44
	v_addc_co_u32_e32 v37, vcc, 0, v45, vcc
	global_load_dwordx2 v[42:43], v[36:37], off offset:2904
	global_load_dwordx2 v[28:29], v[36:37], off offset:2512
	ds_read2_b64 v[38:41], v86 offset0:10 offset1:59
	s_movk_i32 s12, 0x5000
	v_add_co_u32_e32 v48, vcc, s12, v44
	v_addc_co_u32_e32 v49, vcc, 0, v45, vcc
	s_mov_b32 s12, 0x9000
	s_waitcnt vmcnt(1) lgkmcnt(0)
	v_mul_f32_e32 v32, v39, v43
	v_mul_f32_e32 v33, v38, v43
	v_fma_f32 v32, v38, v42, -v32
	v_fmac_f32_e32 v33, v39, v42
	global_load_dwordx2 v[42:43], v[36:37], off offset:3296
	global_load_dwordx2 v[50:51], v[36:37], off offset:3688
	;; [unrolled: 1-line block ×4, first 2 shown]
	s_waitcnt vmcnt(3)
	v_mul_f32_e32 v38, v41, v43
	v_mul_f32_e32 v39, v40, v43
	v_fma_f32 v38, v40, v42, -v38
	v_fmac_f32_e32 v39, v41, v42
	global_load_dwordx2 v[40:41], v[0:1], off offset:3136
	global_load_dwordx2 v[56:57], v[0:1], off offset:3528
	ds_read2_b64 v[44:47], v103 offset0:136 offset1:185
	s_waitcnt vmcnt(1) lgkmcnt(0)
	v_mul_f32_e32 v42, v45, v41
	v_mul_f32_e32 v43, v44, v41
	v_fma_f32 v42, v44, v40, -v42
	v_fmac_f32_e32 v43, v45, v40
	s_waitcnt vmcnt(0)
	v_mul_f32_e32 v40, v47, v57
	v_mul_f32_e32 v41, v46, v57
	v_fma_f32 v40, v46, v56, -v40
	v_fmac_f32_e32 v41, v47, v56
	global_load_dwordx2 v[56:57], v[10:11], off offset:3256
	ds_read2_b64 v[44:47], v95 offset0:54 offset1:103
	s_waitcnt vmcnt(0) lgkmcnt(0)
	v_mul_f32_e32 v58, v45, v57
	v_mul_f32_e32 v59, v44, v57
	v_fma_f32 v58, v44, v56, -v58
	v_fmac_f32_e32 v59, v45, v56
	global_load_dwordx2 v[44:45], v[10:11], off offset:3648
	global_load_dwordx2 v[56:57], v[10:11], off offset:4040
	;; [unrolled: 1-line block ×7, first 2 shown]
	s_waitcnt vmcnt(6)
	v_mul_f32_e32 v64, v47, v45
	v_mul_f32_e32 v65, v46, v45
	v_fma_f32 v64, v46, v44, -v64
	v_fmac_f32_e32 v65, v47, v44
	ds_read2_b64 v[44:47], v78 offset0:100 offset1:149
	s_waitcnt vmcnt(2) lgkmcnt(0)
	v_mul_f32_e32 v72, v45, v67
	v_fma_f32 v72, v44, v66, -v72
	v_mul_f32_e32 v73, v44, v67
	s_waitcnt vmcnt(1)
	v_mul_f32_e32 v44, v47, v69
	v_mul_f32_e32 v67, v46, v69
	v_fmac_f32_e32 v73, v45, v66
	v_fma_f32 v66, v46, v68, -v44
	v_fmac_f32_e32 v67, v47, v68
	ds_read2_b64 v[44:47], v193 offset0:98 offset1:147
	s_waitcnt lgkmcnt(0)
	v_mul_f32_e32 v68, v45, v5
	v_mul_f32_e32 v69, v44, v5
	v_fma_f32 v68, v44, v4, -v68
	v_fmac_f32_e32 v69, v45, v4
	v_mul_f32_e32 v4, v47, v3
	v_mul_f32_e32 v45, v46, v3
	v_fma_f32 v44, v46, v2, -v4
	v_fmac_f32_e32 v45, v47, v2
	ds_read2_b64 v[2:5], v242 offset0:16 offset1:65
	s_waitcnt lgkmcnt(0)
	v_mul_f32_e32 v46, v3, v23
	v_fma_f32 v46, v2, v22, -v46
	v_mul_f32_e32 v47, v2, v23
	v_mul_f32_e32 v2, v5, v21
	;; [unrolled: 1-line block ×3, first 2 shown]
	v_fmac_f32_e32 v47, v3, v22
	v_fma_f32 v22, v4, v20, -v2
	v_fmac_f32_e32 v23, v5, v20
	ds_read2_b64 v[2:5], v98 offset0:190 offset1:239
	s_waitcnt lgkmcnt(0)
	v_mul_f32_e32 v20, v3, v35
	v_mul_f32_e32 v21, v2, v35
	v_fma_f32 v20, v2, v34, -v20
	v_fmac_f32_e32 v21, v3, v34
	global_load_dwordx2 v[2:3], v[30:31], off offset:2688
	global_load_dwordx2 v[34:35], v[30:31], off offset:3080
	;; [unrolled: 1-line block ×3, first 2 shown]
	s_nop 0
	global_load_dwordx2 v[30:31], v[30:31], off offset:3864
	s_waitcnt vmcnt(3)
	v_mul_f32_e32 v76, v5, v3
	v_mul_f32_e32 v77, v4, v3
	v_fma_f32 v76, v4, v2, -v76
	v_fmac_f32_e32 v77, v5, v2
	ds_read2_b64 v[2:5], v86 offset0:108 offset1:157
	s_waitcnt lgkmcnt(0)
	v_mul_f32_e32 v78, v3, v51
	v_fma_f32 v78, v2, v50, -v78
	v_mul_f32_e32 v79, v2, v51
	v_mul_f32_e32 v2, v5, v53
	v_mul_f32_e32 v51, v4, v53
	v_fmac_f32_e32 v79, v3, v50
	v_fma_f32 v50, v4, v52, -v2
	v_fmac_f32_e32 v51, v5, v52
	ds_read2_b64 v[2:5], v84 offset0:106 offset1:155
	s_waitcnt lgkmcnt(0)
	v_mul_f32_e32 v52, v3, v19
	v_fma_f32 v52, v2, v18, -v52
	v_mul_f32_e32 v53, v2, v19
	v_mul_f32_e32 v2, v5, v55
	v_mul_f32_e32 v19, v4, v55
	v_fmac_f32_e32 v53, v3, v18
	;; [unrolled: 10-line block ×3, first 2 shown]
	v_fma_f32 v56, v4, v60, -v2
	v_fmac_f32_e32 v57, v5, v60
	ds_read2_b64 v[2:5], v92 offset0:70 offset1:119
	s_waitcnt lgkmcnt(0)
	v_mul_f32_e32 v60, v3, v71
	v_mul_f32_e32 v61, v2, v71
	v_fma_f32 v60, v2, v70, -v60
	v_fmac_f32_e32 v61, v3, v70
	global_load_dwordx2 v[2:3], v[36:37], off offset:1728
	global_load_dwordx2 v[70:71], v[36:37], off offset:2120
	;; [unrolled: 1-line block ×5, first 2 shown]
	s_waitcnt vmcnt(4)
	v_mul_f32_e32 v84, v5, v3
	v_mul_f32_e32 v85, v4, v3
	v_fma_f32 v84, v4, v2, -v84
	v_fmac_f32_e32 v85, v5, v2
	ds_read2_b64 v[2:5], v193 offset0:196 offset1:245
	s_waitcnt vmcnt(2) lgkmcnt(0)
	v_mul_f32_e32 v108, v3, v87
	v_fma_f32 v108, v2, v86, -v108
	v_mul_f32_e32 v109, v2, v87
	s_waitcnt vmcnt(1)
	v_mul_f32_e32 v2, v5, v97
	v_mul_f32_e32 v87, v4, v97
	v_fmac_f32_e32 v109, v3, v86
	v_fma_f32 v86, v4, v96, -v2
	v_fmac_f32_e32 v87, v5, v96
	ds_read2_b64 v[2:5], v242 offset0:114 offset1:163
	s_waitcnt lgkmcnt(0)
	v_mul_f32_e32 v96, v3, v15
	v_mul_f32_e32 v97, v2, v15
	v_fma_f32 v96, v2, v14, -v96
	v_fmac_f32_e32 v97, v3, v14
	global_load_dwordx2 v[2:3], v[10:11], off offset:2080
	global_load_dwordx2 v[14:15], v[10:11], off offset:2472
	s_waitcnt vmcnt(1)
	v_mul_f32_e32 v114, v5, v3
	v_mul_f32_e32 v115, v4, v3
	v_fma_f32 v114, v4, v2, -v114
	v_fmac_f32_e32 v115, v5, v2
	ds_read2_b64 v[2:5], v130 offset0:32 offset1:81
	s_waitcnt lgkmcnt(0)
	v_mul_f32_e32 v128, v3, v35
	v_fma_f32 v128, v2, v34, -v128
	v_mul_f32_e32 v129, v2, v35
	v_mul_f32_e32 v2, v5, v75
	;; [unrolled: 1-line block ×3, first 2 shown]
	v_fmac_f32_e32 v129, v3, v34
	v_fma_f32 v34, v4, v74, -v2
	v_fmac_f32_e32 v35, v5, v74
	v_add_co_u32_e32 v74, vcc, s12, v89
	v_addc_co_u32_e32 v75, vcc, 0, v94, vcc
	global_load_dwordx2 v[130:131], v[74:75], off offset:376
	global_load_dwordx2 v[136:137], v[74:75], off offset:768
	;; [unrolled: 1-line block ×3, first 2 shown]
	ds_read2_b64 v[2:5], v100 offset0:206 offset1:255
	global_load_dwordx2 v[48:49], v[48:49], off offset:3432
	v_accvgpr_read_b32 v89, a254
	global_load_dwordx2 v[10:11], v[10:11], off offset:2864
	v_accvgpr_write_b32 a240, v89
	v_accvgpr_mov_b32 a254, a101
	s_mov_b32 s12, 0xbee1c552
	s_waitcnt vmcnt(4) lgkmcnt(0)
	v_mul_f32_e32 v194, v3, v131
	v_fma_f32 v194, v2, v130, -v194
	v_mul_f32_e32 v195, v2, v131
	s_waitcnt vmcnt(3)
	v_mul_f32_e32 v2, v5, v137
	v_mul_f32_e32 v131, v4, v137
	v_fmac_f32_e32 v195, v3, v130
	v_fma_f32 v130, v4, v136, -v2
	v_fmac_f32_e32 v131, v5, v136
	global_load_dwordx2 v[4:5], v[0:1], off offset:2744
	ds_read2_b64 v[0:3], v240 offset0:38 offset1:87
	s_waitcnt vmcnt(0) lgkmcnt(0)
	v_mul_f32_e32 v136, v3, v5
	v_fma_f32 v136, v2, v4, -v136
	v_mul_f32_e32 v137, v2, v5
	v_mul_f32_e32 v2, v1, v103
	v_mul_f32_e32 v5, v0, v103
	v_fmac_f32_e32 v137, v3, v4
	v_fma_f32 v4, v0, v102, -v2
	v_fmac_f32_e32 v5, v1, v102
	ds_read2_b64 v[0:3], v241 offset0:76 offset1:125
	s_waitcnt lgkmcnt(0)
	v_mul_f32_e32 v102, v1, v49
	v_fma_f32 v102, v0, v48, -v102
	v_mul_f32_e32 v103, v0, v49
	v_mul_f32_e32 v0, v3, v139
	v_mul_f32_e32 v49, v2, v139
	v_fmac_f32_e32 v103, v1, v48
	v_fma_f32 v48, v2, v138, -v0
	v_fmac_f32_e32 v49, v3, v138
	ds_read2_b64 v[0:3], v89 offset0:84 offset1:133
	s_waitcnt lgkmcnt(0)
	;; [unrolled: 10-line block ×3, first 2 shown]
	v_mul_f32_e32 v14, v1, v63
	v_fma_f32 v14, v0, v62, -v14
	v_mul_f32_e32 v15, v0, v63
	v_mul_f32_e32 v0, v3, v17
	;; [unrolled: 1-line block ×3, first 2 shown]
	v_fmac_f32_e32 v15, v1, v62
	v_fma_f32 v62, v2, v16, -v0
	v_fmac_f32_e32 v63, v3, v16
	global_load_dwordx2 v[16:17], v[36:37], off offset:160
	ds_read2_b64 v[0:3], v99 offset0:130 offset1:179
	s_waitcnt vmcnt(0) lgkmcnt(0)
	v_mul_f32_e32 v36, v3, v17
	v_fma_f32 v36, v2, v16, -v36
	v_mul_f32_e32 v37, v2, v17
	v_mul_f32_e32 v2, v1, v31
	;; [unrolled: 1-line block ×3, first 2 shown]
	v_fmac_f32_e32 v37, v3, v16
	v_fma_f32 v16, v0, v30, -v2
	v_fmac_f32_e32 v17, v1, v30
	ds_read2_b64 v[0:3], v92 offset0:168 offset1:217
	s_waitcnt lgkmcnt(0)
	v_mul_f32_e32 v30, v1, v71
	v_fma_f32 v30, v0, v70, -v30
	v_mul_f32_e32 v31, v0, v71
	v_mul_f32_e32 v0, v3, v29
	v_fmac_f32_e32 v31, v1, v70
	v_fma_f32 v0, v2, v28, -v0
	v_mul_f32_e32 v1, v2, v29
	v_add_u32_e32 v2, 0x400, v193
	v_fmac_f32_e32 v1, v3, v28
	ds_write2_b64 v2, v[86:87], v[4:5] offset0:117 offset1:166
	v_add_u32_e32 v2, 0x3c00, v193
	ds_write2_b64 v2, v[0:1], v[32:33] offset0:89 offset1:138
	ds_write2_b64 v240, v[136:137], v[42:43] offset0:87 offset1:136
	;; [unrolled: 1-line block ×6, first 2 shown]
	v_accvgpr_read_b32 v4, a101
	v_accvgpr_read_b32 v0, a255
	ds_write2_b64 v98, v[26:27], v[20:21] offset0:141 offset1:190
	ds_write2_b64 v100, v[38:39], v[78:79] offset0:59 offset1:108
	;; [unrolled: 1-line block ×13, first 2 shown]
	global_load_dwordx2 v[0:1], v[74:75], off offset:1160
	ds_read_b64 v[2:3], v193 offset:18816
	ds_write2_b64 v4, v[114:115], v[10:11] offset0:163 offset1:212
	v_accvgpr_read_b32 v6, a255
	v_mov_b32_e32 v46, v240
	ds_write2_b64 v98, v[62:63], v[24:25] offset0:43 offset1:92
	ds_write2_b64 v99, v[34:35], v[16:17] offset0:81 offset1:130
	v_accvgpr_read_b32 v9, a101
	v_mov_b32_e32 v8, v98
	v_accvgpr_write_b32 a241, v8
	v_accvgpr_write_b32 a101, v95
	v_accvgpr_read_b32 v44, a255
	v_accvgpr_write_b32 a248, v46
	v_accvgpr_write_b32 a0, v44
	v_accvgpr_write_b32 a255, v99
	s_waitcnt vmcnt(0) lgkmcnt(3)
	v_mul_f32_e32 v4, v3, v1
	v_mul_f32_e32 v5, v2, v1
	v_fma_f32 v4, v2, v0, -v4
	v_fmac_f32_e32 v5, v3, v0
	ds_write2_b64 v91, v[130:131], v[4:5] offset0:127 offset1:176
	s_waitcnt lgkmcnt(0)
	; wave barrier
	s_waitcnt lgkmcnt(0)
	ds_read2_b64 v[0:3], v6 offset0:174 offset1:223
	ds_read2_b64 v[240:243], v99 offset0:130 offset1:179
	;; [unrolled: 1-line block ×3, first 2 shown]
	s_waitcnt lgkmcnt(1)
	v_add_f32_e32 v30, v0, v242
	v_add_f32_e32 v28, v1, v243
	v_sub_f32_e32 v26, v0, v242
	v_sub_f32_e32 v24, v1, v243
	s_waitcnt lgkmcnt(0)
	v_add_f32_e32 v67, v2, v4
	v_add_f32_e32 v88, v3, v5
	v_sub_f32_e32 v90, v2, v4
	v_sub_f32_e32 v98, v3, v5
	ds_read2_b64 v[0:3], v9 offset0:16 offset1:65
	s_waitcnt lgkmcnt(0)
	v_add_f32_e32 v19, v0, v6
	v_add_f32_e32 v60, v1, v7
	v_sub_f32_e32 v61, v0, v6
	v_sub_f32_e32 v66, v1, v7
	ds_read2_b64 v[4:7], v92 offset0:70 offset1:119
	;; [unrolled: 6-line block ×11, first 2 shown]
	ds_read2_b64 v[76:79], v46 offset0:38 offset1:87
	ds_read2_b64 v[128:131], v100 offset0:10 offset1:59
	;; [unrolled: 1-line block ×5, first 2 shown]
	s_waitcnt lgkmcnt(5)
	v_add_f32_e32 v51, v0, v6
	s_waitcnt lgkmcnt(3)
	v_add_f32_e32 v114, v78, v128
	v_sub_f32_e32 v49, v6, v0
	v_add_f32_e32 v0, v30, v114
	v_add_f32_e32 v136, v79, v129
	;; [unrolled: 1-line block ×4, first 2 shown]
	v_sub_f32_e32 v41, v240, v2
	v_sub_f32_e32 v40, v241, v3
	v_add_f32_e32 v115, v64, v0
	v_add_f32_e32 v0, v28, v136
	ds_read2_b64 v[240:243], v46 offset0:136 offset1:185
	v_add_f32_e32 v50, v1, v7
	v_sub_f32_e32 v48, v7, v1
	v_add_f32_e32 v137, v65, v0
	ds_read2_b64 v[0:3], v193 offset1:49
	s_waitcnt lgkmcnt(1)
	v_add_f32_e32 v138, v240, v130
	v_add_f32_e32 v194, v241, v131
	;; [unrolled: 1-line block ×4, first 2 shown]
	s_waitcnt lgkmcnt(0)
	v_add_f32_e32 v62, v115, v0
	v_add_f32_e32 v0, v67, v138
	;; [unrolled: 1-line block ×12, first 2 shown]
	ds_read2_b64 v[0:3], v193 offset0:98 offset1:147
	v_add_f32_e32 v89, v248, v246
	v_add_f32_e32 v95, v249, v247
	;; [unrolled: 1-line block ×4, first 2 shown]
	s_waitcnt lgkmcnt(0)
	v_add_f32_e32 v8, v53, v0
	v_add_f32_e32 v0, v23, v89
	;; [unrolled: 1-line block ×8, first 2 shown]
	ds_read2_b64 v[12:15], v44 offset0:76 offset1:125
	v_add_f32_e32 v9, v16, v1
	v_add_f32_e32 v6, v94, v2
	;; [unrolled: 1-line block ×4, first 2 shown]
	ds_read2_b64 v[0:3], v193 offset0:196 offset1:245
	s_waitcnt lgkmcnt(1)
	v_add_f32_e32 v56, v12, v254
	v_add_f32_e32 v57, v13, v255
	v_sub_f32_e32 v59, v12, v254
	v_sub_f32_e32 v12, v78, v128
	s_waitcnt lgkmcnt(0)
	v_add_f32_e32 v4, v92, v0
	v_add_f32_e32 v0, v35, v56
	;; [unrolled: 1-line block ×6, first 2 shown]
	ds_read_b64 v[0:1], v193 offset:18816
	v_sub_f32_e32 v254, v13, v255
	v_sub_f32_e32 v13, v79, v129
	v_mov_b32_e32 v129, v62
	v_fmac_f32_e32 v129, 0xbf955555, v115
	s_waitcnt lgkmcnt(0)
	v_add_f32_e32 v47, v14, v0
	v_add_f32_e32 v46, v15, v1
	v_sub_f32_e32 v45, v14, v0
	v_add_f32_e32 v0, v39, v47
	v_add_f32_e32 v78, v43, v0
	v_add_f32_e32 v0, v38, v46
	v_add_f32_e32 v79, v42, v0
	v_sub_f32_e32 v44, v15, v1
	v_add_f32_e32 v0, v78, v76
	v_add_f32_e32 v1, v79, v77
	v_sub_f32_e32 v76, v30, v114
	v_sub_f32_e32 v14, v114, v64
	;; [unrolled: 1-line block ×6, first 2 shown]
	v_add_f32_e32 v65, v68, v26
	v_sub_f32_e32 v77, v68, v26
	v_sub_f32_e32 v26, v26, v12
	;; [unrolled: 1-line block ×3, first 2 shown]
	v_add_f32_e32 v65, v65, v12
	v_add_f32_e32 v12, v69, v24
	v_sub_f32_e32 v114, v69, v24
	v_sub_f32_e32 v24, v24, v13
	v_mul_f32_e32 v77, 0x3f08b237, v77
	v_mul_f32_e32 v136, 0x3f5ff5aa, v26
	v_sub_f32_e32 v69, v13, v69
	v_add_f32_e32 v128, v12, v13
	v_mov_b32_e32 v115, v63
	v_fma_f32 v26, v26, s8, -v77
	v_fmac_f32_e32 v77, 0xbeae86e6, v68
	v_fmac_f32_e32 v136, 0x3eae86e6, v68
	v_mul_f32_e32 v68, 0x3f08b237, v114
	v_mul_f32_e32 v114, 0x3f5ff5aa, v24
	;; [unrolled: 1-line block ×4, first 2 shown]
	v_fmac_f32_e32 v115, 0xbf955555, v137
	v_fma_f32 v24, v24, s8, -v68
	v_fmac_f32_e32 v68, 0xbeae86e6, v69
	v_fmac_f32_e32 v114, 0x3eae86e6, v69
	v_fma_f32 v14, v76, s7, -v12
	v_fmac_f32_e32 v12, 0x3d64c772, v30
	v_fma_f32 v15, v64, s7, -v13
	v_fmac_f32_e32 v13, 0x3d64c772, v28
	v_sub_f32_e32 v130, v240, v130
	v_sub_f32_e32 v131, v241, v131
	v_add_f32_e32 v69, v12, v129
	v_add_f32_e32 v137, v13, v115
	;; [unrolled: 1-line block ×4, first 2 shown]
	v_fmac_f32_e32 v77, 0xbee1c552, v65
	v_fmac_f32_e32 v68, 0xbee1c552, v128
	v_fmac_f32_e32 v136, 0xbee1c552, v65
	v_fmac_f32_e32 v114, 0xbee1c552, v128
	v_sub_f32_e32 v242, v242, v244
	v_add_f32_e32 v12, v69, v68
	v_sub_f32_e32 v13, v137, v77
	v_add_f32_e32 v14, v114, v240
	v_sub_f32_e32 v15, v241, v136
	v_accvgpr_read_b32 v244, a201
	s_waitcnt lgkmcnt(0)
	; wave barrier
	ds_write2_b64 v244, v[12:13], v[14:15] offset0:1 offset1:2
	v_mul_f32_e32 v12, 0x3d64c772, v30
	v_mul_f32_e32 v13, 0x3d64c772, v28
	v_fma_f32 v12, v76, s6, -v12
	v_fma_f32 v13, v64, s6, -v13
	v_add_f32_e32 v14, v12, v129
	v_add_f32_e32 v15, v13, v115
	v_fmac_f32_e32 v26, 0xbee1c552, v65
	v_fmac_f32_e32 v24, 0xbee1c552, v128
	v_sub_f32_e32 v12, v14, v24
	v_add_f32_e32 v13, v26, v15
	v_add_f32_e32 v14, v24, v14
	v_sub_f32_e32 v15, v15, v26
	ds_write2_b64 v244, v[12:13], v[14:15] offset0:3 offset1:4
	v_sub_f32_e32 v12, v240, v114
	v_add_f32_e32 v13, v136, v241
	v_sub_f32_e32 v14, v69, v68
	v_add_f32_e32 v15, v77, v137
	ds_write2_b64 v244, v[12:13], v[14:15] offset0:5 offset1:6
	ds_write_b64 v244, v[62:63]
	v_add_f32_e32 v14, v72, v90
	v_sub_f32_e32 v15, v72, v90
	v_sub_f32_e32 v63, v90, v130
	;; [unrolled: 1-line block ×7, first 2 shown]
	v_add_f32_e32 v64, v14, v130
	v_add_f32_e32 v14, v73, v98
	v_sub_f32_e32 v65, v73, v98
	v_sub_f32_e32 v67, v131, v73
	;; [unrolled: 1-line block ×3, first 2 shown]
	v_mul_f32_e32 v72, 0x3f08b237, v15
	v_mul_f32_e32 v73, 0x3f5ff5aa, v63
	v_sub_f32_e32 v28, v88, v194
	v_sub_f32_e32 v30, v71, v88
	v_mov_b32_e32 v70, v10
	v_mov_b32_e32 v71, v11
	v_fma_f32 v63, v63, s8, -v72
	v_fmac_f32_e32 v72, 0xbeae86e6, v62
	v_fmac_f32_e32 v73, 0x3eae86e6, v62
	v_mul_f32_e32 v62, 0x3f08b237, v65
	v_mul_f32_e32 v65, 0x3f5ff5aa, v68
	;; [unrolled: 1-line block ×4, first 2 shown]
	v_add_f32_e32 v69, v14, v131
	v_fmac_f32_e32 v70, 0xbf955555, v139
	v_fmac_f32_e32 v71, 0xbf955555, v195
	v_fma_f32 v68, v68, s8, -v62
	v_fmac_f32_e32 v62, 0xbeae86e6, v67
	v_fmac_f32_e32 v65, 0x3eae86e6, v67
	v_fma_f32 v14, v24, s7, -v12
	v_fmac_f32_e32 v12, 0x3d64c772, v26
	v_fma_f32 v15, v28, s7, -v13
	v_fmac_f32_e32 v13, 0x3d64c772, v30
	v_add_f32_e32 v67, v12, v70
	v_add_f32_e32 v76, v13, v71
	;; [unrolled: 1-line block ×4, first 2 shown]
	v_fmac_f32_e32 v72, 0xbee1c552, v64
	v_fmac_f32_e32 v62, 0xbee1c552, v69
	;; [unrolled: 1-line block ×4, first 2 shown]
	v_add_f32_e32 v12, v67, v62
	v_sub_f32_e32 v13, v76, v72
	v_add_f32_e32 v14, v65, v77
	v_sub_f32_e32 v15, v88, v73
	v_accvgpr_read_b32 v90, a200
	ds_write2_b64 v90, v[12:13], v[14:15] offset0:1 offset1:2
	v_mul_f32_e32 v12, 0x3d64c772, v26
	v_mul_f32_e32 v13, 0x3d64c772, v30
	v_fma_f32 v12, v24, s6, -v12
	v_fma_f32 v13, v28, s6, -v13
	v_add_f32_e32 v14, v12, v70
	v_add_f32_e32 v15, v13, v71
	v_fmac_f32_e32 v63, 0xbee1c552, v64
	v_fmac_f32_e32 v68, 0xbee1c552, v69
	v_sub_f32_e32 v12, v14, v68
	v_add_f32_e32 v13, v63, v15
	v_add_f32_e32 v14, v68, v14
	v_sub_f32_e32 v15, v15, v63
	v_accvgpr_read_b32 v24, a200
	ds_write2_b64 v24, v[12:13], v[14:15] offset0:3 offset1:4
	v_sub_f32_e32 v12, v77, v65
	v_add_f32_e32 v13, v73, v88
	v_sub_f32_e32 v14, v67, v62
	v_add_f32_e32 v15, v72, v76
	v_mov_b32_e32 v62, v8
	v_sub_f32_e32 v243, v243, v245
	ds_write2_b64 v24, v[12:13], v[14:15] offset0:5 offset1:6
	ds_write_b64 v24, v[10:11]
	v_sub_f32_e32 v13, v84, v61
	v_sub_f32_e32 v28, v61, v242
	v_fmac_f32_e32 v62, 0xbf955555, v53
	v_mov_b32_e32 v53, v9
	v_sub_f32_e32 v14, v19, v52
	v_sub_f32_e32 v10, v52, v74
	;; [unrolled: 1-line block ×6, first 2 shown]
	v_add_f32_e32 v12, v84, v61
	v_sub_f32_e32 v26, v242, v84
	v_sub_f32_e32 v52, v85, v66
	;; [unrolled: 1-line block ×3, first 2 shown]
	v_fmac_f32_e32 v53, 0xbf955555, v16
	v_mul_f32_e32 v16, 0x3f08b237, v13
	v_mul_f32_e32 v63, 0x3f5ff5aa, v28
	v_add_f32_e32 v30, v12, v242
	v_add_f32_e32 v12, v85, v66
	v_sub_f32_e32 v58, v243, v85
	v_fma_f32 v28, v28, s8, -v16
	v_fmac_f32_e32 v16, 0xbeae86e6, v26
	v_fmac_f32_e32 v63, 0x3eae86e6, v26
	v_mul_f32_e32 v26, 0x3f08b237, v52
	v_mul_f32_e32 v52, 0x3f5ff5aa, v60
	;; [unrolled: 1-line block ×4, first 2 shown]
	v_add_f32_e32 v61, v12, v243
	v_fma_f32 v60, v60, s8, -v26
	v_fmac_f32_e32 v26, 0xbeae86e6, v58
	v_fmac_f32_e32 v52, 0x3eae86e6, v58
	v_fma_f32 v12, v14, s7, -v10
	v_fmac_f32_e32 v10, 0x3d64c772, v15
	v_fma_f32 v13, v19, s7, -v11
	v_fmac_f32_e32 v11, 0x3d64c772, v24
	v_add_f32_e32 v58, v10, v62
	v_add_f32_e32 v64, v11, v53
	v_add_f32_e32 v65, v12, v62
	v_add_f32_e32 v66, v13, v53
	v_fmac_f32_e32 v16, 0xbee1c552, v30
	v_fmac_f32_e32 v26, 0xbee1c552, v61
	;; [unrolled: 1-line block ×4, first 2 shown]
	v_add_f32_e32 v10, v58, v26
	v_sub_f32_e32 v11, v64, v16
	v_add_f32_e32 v12, v52, v65
	v_sub_f32_e32 v13, v66, v63
	v_accvgpr_read_b32 v67, a187
	ds_write2_b64 v67, v[10:11], v[12:13] offset0:1 offset1:2
	v_mul_f32_e32 v10, 0x3d64c772, v15
	v_mul_f32_e32 v11, 0x3d64c772, v24
	v_fma_f32 v10, v14, s6, -v10
	v_fma_f32 v11, v19, s6, -v11
	v_add_f32_e32 v12, v10, v62
	v_add_f32_e32 v13, v11, v53
	v_fmac_f32_e32 v28, 0xbee1c552, v30
	v_fmac_f32_e32 v60, 0xbee1c552, v61
	v_sub_f32_e32 v10, v12, v60
	v_add_f32_e32 v11, v28, v13
	v_add_f32_e32 v12, v60, v12
	v_sub_f32_e32 v13, v13, v28
	v_accvgpr_read_b32 v14, a187
	v_sub_f32_e32 v101, v248, v246
	ds_write2_b64 v14, v[10:11], v[12:13] offset0:3 offset1:4
	v_sub_f32_e32 v10, v65, v52
	v_add_f32_e32 v11, v63, v66
	v_sub_f32_e32 v12, v58, v26
	v_add_f32_e32 v13, v16, v64
	v_sub_f32_e32 v246, v249, v247
	ds_write2_b64 v14, v[10:11], v[12:13] offset0:5 offset1:6
	ds_write_b64 v14, v[8:9]
	v_add_f32_e32 v10, v96, v21
	v_sub_f32_e32 v11, v96, v21
	v_sub_f32_e32 v19, v21, v101
	v_mov_b32_e32 v28, v7
	v_sub_f32_e32 v8, v89, v86
	v_sub_f32_e32 v14, v22, v95
	v_sub_f32_e32 v9, v95, v87
	v_sub_f32_e32 v15, v87, v22
	v_sub_f32_e32 v16, v101, v96
	v_add_f32_e32 v21, v10, v101
	v_add_f32_e32 v10, v97, v20
	v_sub_f32_e32 v22, v97, v20
	v_sub_f32_e32 v20, v20, v246
	v_fmac_f32_e32 v28, 0xbf955555, v17
	v_mul_f32_e32 v17, 0x3f08b237, v11
	v_mul_f32_e32 v30, 0x3f5ff5aa, v19
	v_sub_f32_e32 v12, v23, v89
	v_sub_f32_e32 v13, v86, v23
	;; [unrolled: 1-line block ×3, first 2 shown]
	v_mov_b32_e32 v26, v6
	v_fma_f32 v19, v19, s8, -v17
	v_fmac_f32_e32 v17, 0xbeae86e6, v16
	v_fmac_f32_e32 v30, 0x3eae86e6, v16
	v_mul_f32_e32 v16, 0x3f08b237, v22
	v_mul_f32_e32 v22, 0x3f5ff5aa, v20
	;; [unrolled: 1-line block ×4, first 2 shown]
	v_add_f32_e32 v24, v10, v246
	v_fmac_f32_e32 v26, 0xbf955555, v94
	v_fma_f32 v20, v20, s8, -v16
	v_fmac_f32_e32 v16, 0xbeae86e6, v23
	v_fmac_f32_e32 v22, 0x3eae86e6, v23
	v_fma_f32 v10, v12, s7, -v8
	v_fmac_f32_e32 v8, 0x3d64c772, v13
	v_fma_f32 v11, v14, s7, -v9
	v_fmac_f32_e32 v9, 0x3d64c772, v15
	v_add_f32_e32 v23, v8, v26
	v_add_f32_e32 v52, v9, v28
	;; [unrolled: 1-line block ×4, first 2 shown]
	v_fmac_f32_e32 v17, 0xbee1c552, v21
	v_fmac_f32_e32 v16, 0xbee1c552, v24
	;; [unrolled: 1-line block ×4, first 2 shown]
	v_add_f32_e32 v8, v23, v16
	v_sub_f32_e32 v9, v52, v17
	v_add_f32_e32 v10, v22, v53
	v_sub_f32_e32 v11, v58, v30
	v_accvgpr_read_b32 v60, a186
	ds_write2_b64 v60, v[8:9], v[10:11] offset0:1 offset1:2
	v_mul_f32_e32 v8, 0x3d64c772, v13
	v_mul_f32_e32 v9, 0x3d64c772, v15
	v_fma_f32 v8, v12, s6, -v8
	v_fma_f32 v9, v14, s6, -v9
	v_add_f32_e32 v10, v8, v26
	v_add_f32_e32 v11, v9, v28
	v_fmac_f32_e32 v19, 0xbee1c552, v21
	v_fmac_f32_e32 v20, 0xbee1c552, v24
	v_sub_f32_e32 v8, v10, v20
	v_add_f32_e32 v9, v19, v11
	v_add_f32_e32 v10, v20, v10
	v_sub_f32_e32 v11, v11, v19
	v_accvgpr_read_b32 v12, a186
	v_sub_f32_e32 v99, v250, v252
	ds_write2_b64 v12, v[8:9], v[10:11] offset0:3 offset1:4
	v_sub_f32_e32 v8, v53, v22
	v_add_f32_e32 v9, v30, v58
	v_sub_f32_e32 v10, v23, v16
	v_add_f32_e32 v11, v17, v52
	v_sub_f32_e32 v100, v251, v253
	ds_write2_b64 v12, v[8:9], v[10:11] offset0:5 offset1:6
	ds_write_b64 v12, v[6:7]
	v_sub_f32_e32 v9, v108, v27
	v_sub_f32_e32 v15, v27, v99
	v_mov_b32_e32 v23, v5
	v_sub_f32_e32 v6, v91, v102
	v_sub_f32_e32 v7, v93, v103
	v_add_f32_e32 v8, v108, v27
	v_sub_f32_e32 v14, v99, v108
	v_sub_f32_e32 v17, v109, v25
	;; [unrolled: 1-line block ×3, first 2 shown]
	v_fmac_f32_e32 v23, 0xbf955555, v18
	v_mul_f32_e32 v18, 0x3f08b237, v9
	v_mul_f32_e32 v24, 0x3f5ff5aa, v15
	v_sub_f32_e32 v10, v31, v91
	v_sub_f32_e32 v11, v102, v31
	v_sub_f32_e32 v12, v29, v93
	v_sub_f32_e32 v13, v103, v29
	v_add_f32_e32 v16, v8, v99
	v_add_f32_e32 v8, v109, v25
	v_sub_f32_e32 v19, v100, v109
	v_mov_b32_e32 v22, v4
	v_fma_f32 v15, v15, s8, -v18
	v_fmac_f32_e32 v18, 0xbeae86e6, v14
	v_fmac_f32_e32 v24, 0x3eae86e6, v14
	v_mul_f32_e32 v14, 0x3f08b237, v17
	v_mul_f32_e32 v17, 0x3f5ff5aa, v20
	;; [unrolled: 1-line block ×4, first 2 shown]
	v_add_f32_e32 v21, v8, v100
	v_fmac_f32_e32 v22, 0xbf955555, v92
	v_fma_f32 v20, v20, s8, -v14
	v_fmac_f32_e32 v14, 0xbeae86e6, v19
	v_fmac_f32_e32 v17, 0x3eae86e6, v19
	v_fma_f32 v8, v10, s7, -v6
	v_fmac_f32_e32 v6, 0x3d64c772, v11
	v_fma_f32 v9, v12, s7, -v7
	v_fmac_f32_e32 v7, 0x3d64c772, v13
	v_add_f32_e32 v19, v6, v22
	v_add_f32_e32 v25, v7, v23
	;; [unrolled: 1-line block ×4, first 2 shown]
	v_fmac_f32_e32 v18, 0xbee1c552, v16
	v_fmac_f32_e32 v14, 0xbee1c552, v21
	v_fmac_f32_e32 v24, 0xbee1c552, v16
	v_fmac_f32_e32 v17, 0xbee1c552, v21
	v_add_f32_e32 v6, v19, v14
	v_sub_f32_e32 v7, v25, v18
	v_add_f32_e32 v8, v17, v26
	v_sub_f32_e32 v9, v27, v24
	v_accvgpr_read_b32 v28, a3
	ds_write2_b64 v28, v[6:7], v[8:9] offset0:1 offset1:2
	v_mul_f32_e32 v6, 0x3d64c772, v11
	v_mul_f32_e32 v7, 0x3d64c772, v13
	v_fma_f32 v6, v10, s6, -v6
	v_fma_f32 v7, v12, s6, -v7
	v_add_f32_e32 v8, v6, v22
	v_add_f32_e32 v9, v7, v23
	v_fmac_f32_e32 v15, 0xbee1c552, v16
	v_fmac_f32_e32 v20, 0xbee1c552, v21
	v_sub_f32_e32 v6, v8, v20
	v_add_f32_e32 v7, v15, v9
	v_add_f32_e32 v8, v20, v8
	v_sub_f32_e32 v9, v9, v15
	v_accvgpr_read_b32 v10, a3
	ds_write2_b64 v10, v[6:7], v[8:9] offset0:3 offset1:4
	v_sub_f32_e32 v6, v26, v17
	v_add_f32_e32 v7, v24, v27
	v_sub_f32_e32 v8, v19, v14
	v_add_f32_e32 v9, v18, v25
	ds_write2_b64 v10, v[6:7], v[8:9] offset0:5 offset1:6
	ds_write_b64 v10, v[4:5]
	v_sub_f32_e32 v7, v49, v33
	v_sub_f32_e32 v13, v33, v59
	v_add_f32_e32 v2, v54, v2
	v_add_f32_e32 v3, v55, v3
	v_sub_f32_e32 v4, v56, v51
	v_sub_f32_e32 v5, v57, v50
	v_add_f32_e32 v6, v49, v33
	v_sub_f32_e32 v12, v59, v49
	v_sub_f32_e32 v15, v48, v32
	;; [unrolled: 1-line block ×3, first 2 shown]
	v_mul_f32_e32 v21, 0x3f08b237, v7
	v_mul_f32_e32 v22, 0x3f5ff5aa, v13
	v_sub_f32_e32 v8, v35, v56
	v_sub_f32_e32 v9, v51, v35
	;; [unrolled: 1-line block ×4, first 2 shown]
	v_add_f32_e32 v14, v6, v59
	v_add_f32_e32 v6, v48, v32
	v_sub_f32_e32 v16, v254, v48
	v_mov_b32_e32 v19, v2
	v_mov_b32_e32 v20, v3
	v_fma_f32 v13, v13, s8, -v21
	v_fmac_f32_e32 v21, 0xbeae86e6, v12
	v_fmac_f32_e32 v22, 0x3eae86e6, v12
	v_mul_f32_e32 v12, 0x3f08b237, v15
	v_mul_f32_e32 v15, 0x3f5ff5aa, v17
	;; [unrolled: 1-line block ×4, first 2 shown]
	v_add_f32_e32 v18, v6, v254
	v_fmac_f32_e32 v19, 0xbf955555, v54
	v_fmac_f32_e32 v20, 0xbf955555, v55
	v_fma_f32 v17, v17, s8, -v12
	v_fmac_f32_e32 v12, 0xbeae86e6, v16
	v_fmac_f32_e32 v15, 0x3eae86e6, v16
	v_fma_f32 v6, v8, s7, -v4
	v_fmac_f32_e32 v4, 0x3d64c772, v9
	v_fma_f32 v7, v10, s7, -v5
	v_fmac_f32_e32 v5, 0x3d64c772, v11
	v_add_f32_e32 v16, v4, v19
	v_add_f32_e32 v23, v5, v20
	;; [unrolled: 1-line block ×4, first 2 shown]
	v_fmac_f32_e32 v21, 0xbee1c552, v14
	v_fmac_f32_e32 v12, 0xbee1c552, v18
	;; [unrolled: 1-line block ×4, first 2 shown]
	v_add_f32_e32 v4, v16, v12
	v_sub_f32_e32 v5, v23, v21
	v_add_f32_e32 v6, v15, v24
	v_sub_f32_e32 v7, v25, v22
	v_accvgpr_read_b32 v26, a5
	ds_write2_b64 v26, v[4:5], v[6:7] offset0:1 offset1:2
	v_mul_f32_e32 v4, 0x3d64c772, v9
	v_mul_f32_e32 v5, 0x3d64c772, v11
	v_fma_f32 v4, v8, s6, -v4
	v_fma_f32 v5, v10, s6, -v5
	v_add_f32_e32 v6, v4, v19
	v_add_f32_e32 v7, v5, v20
	v_fmac_f32_e32 v13, 0xbee1c552, v14
	v_fmac_f32_e32 v17, 0xbee1c552, v18
	v_sub_f32_e32 v4, v6, v17
	v_add_f32_e32 v5, v13, v7
	v_add_f32_e32 v6, v17, v6
	v_sub_f32_e32 v7, v7, v13
	v_accvgpr_read_b32 v8, a5
	ds_write2_b64 v8, v[4:5], v[6:7] offset0:3 offset1:4
	v_sub_f32_e32 v4, v24, v15
	v_add_f32_e32 v5, v22, v25
	v_sub_f32_e32 v6, v16, v12
	v_add_f32_e32 v7, v21, v23
	ds_write2_b64 v8, v[4:5], v[6:7] offset0:5 offset1:6
	ds_write_b64 v8, v[2:3]
	buffer_load_dword v24, off, s[24:27], 0 ; 4-byte Folded Reload
	v_sub_f32_e32 v5, v41, v37
	v_sub_f32_e32 v11, v37, v45
	;; [unrolled: 1-line block ×4, first 2 shown]
	v_add_f32_e32 v4, v41, v37
	v_sub_f32_e32 v10, v45, v41
	v_sub_f32_e32 v13, v40, v36
	;; [unrolled: 1-line block ×3, first 2 shown]
	v_mul_f32_e32 v19, 0x3f08b237, v5
	v_mul_f32_e32 v20, 0x3f5ff5aa, v11
	v_sub_f32_e32 v6, v39, v47
	v_sub_f32_e32 v7, v43, v39
	;; [unrolled: 1-line block ×4, first 2 shown]
	v_add_f32_e32 v12, v4, v45
	v_add_f32_e32 v4, v40, v36
	v_sub_f32_e32 v14, v44, v40
	v_mov_b32_e32 v17, v0
	v_mov_b32_e32 v18, v1
	v_fma_f32 v11, v11, s8, -v19
	v_fmac_f32_e32 v19, 0xbeae86e6, v10
	v_fmac_f32_e32 v20, 0x3eae86e6, v10
	v_mul_f32_e32 v10, 0x3f08b237, v13
	v_mul_f32_e32 v13, 0x3f5ff5aa, v15
	;; [unrolled: 1-line block ×4, first 2 shown]
	v_add_f32_e32 v16, v4, v44
	v_fmac_f32_e32 v17, 0xbf955555, v78
	v_fmac_f32_e32 v18, 0xbf955555, v79
	v_fma_f32 v15, v15, s8, -v10
	v_fmac_f32_e32 v10, 0xbeae86e6, v14
	v_fmac_f32_e32 v13, 0x3eae86e6, v14
	v_fma_f32 v4, v6, s7, -v2
	v_fmac_f32_e32 v2, 0x3d64c772, v7
	v_fma_f32 v5, v8, s7, -v3
	v_fmac_f32_e32 v3, 0x3d64c772, v9
	v_add_f32_e32 v14, v2, v17
	v_add_f32_e32 v21, v3, v18
	;; [unrolled: 1-line block ×4, first 2 shown]
	v_fmac_f32_e32 v19, 0xbee1c552, v12
	v_fmac_f32_e32 v10, 0xbee1c552, v16
	;; [unrolled: 1-line block ×4, first 2 shown]
	v_add_f32_e32 v2, v14, v10
	v_sub_f32_e32 v3, v21, v19
	v_add_f32_e32 v4, v13, v22
	v_sub_f32_e32 v5, v23, v20
	v_fmac_f32_e32 v11, 0xbee1c552, v12
	v_fmac_f32_e32 v15, 0xbee1c552, v16
	v_accvgpr_read_b32 v73, a248
	v_accvgpr_read_b32 v70, a0
	;; [unrolled: 1-line block ×16, first 2 shown]
	s_waitcnt vmcnt(0)
	ds_write2_b64 v24, v[2:3], v[4:5] offset0:1 offset1:2
	v_mul_f32_e32 v2, 0x3d64c772, v7
	v_mul_f32_e32 v3, 0x3d64c772, v9
	v_fma_f32 v2, v6, s6, -v2
	v_fma_f32 v3, v8, s6, -v3
	v_add_f32_e32 v4, v2, v17
	v_add_f32_e32 v5, v3, v18
	v_sub_f32_e32 v2, v4, v15
	v_add_f32_e32 v3, v11, v5
	v_add_f32_e32 v4, v15, v4
	v_sub_f32_e32 v5, v5, v11
	ds_write2_b64 v24, v[2:3], v[4:5] offset0:3 offset1:4
	v_sub_f32_e32 v2, v22, v13
	v_add_f32_e32 v3, v20, v23
	v_sub_f32_e32 v4, v14, v10
	v_add_f32_e32 v5, v19, v21
	ds_write2_b64 v24, v[2:3], v[4:5] offset0:5 offset1:6
	ds_write_b64 v24, v[0:1]
	s_waitcnt lgkmcnt(0)
	; wave barrier
	s_waitcnt lgkmcnt(0)
	ds_read2_b64 v[240:243], v73 offset0:38 offset1:87
	ds_read2_b64 v[6:9], v70 offset0:174 offset1:223
	v_accvgpr_read_b32 v12, a176
	v_accvgpr_read_b32 v13, a177
	v_accvgpr_read_b32 v15, a179
	s_waitcnt lgkmcnt(1)
	v_mul_f32_e32 v0, v145, v242
	v_fma_f32 v29, v144, v243, -v0
	s_waitcnt lgkmcnt(0)
	v_mul_f32_e32 v44, v147, v7
	v_mul_f32_e32 v0, v147, v6
	v_fmac_f32_e32 v44, v146, v6
	v_fma_f32 v45, v146, v7, -v0
	ds_read2_b64 v[4:7], v86 offset0:84 offset1:133
	v_accvgpr_read_b32 v14, a178
	ds_read2_b64 v[136:139], v73 offset0:136 offset1:185
	v_mul_f32_e32 v28, v145, v243
	v_fmac_f32_e32 v28, v144, v242
	s_waitcnt lgkmcnt(1)
	v_mul_f32_e32 v46, v13, v7
	v_mul_f32_e32 v0, v13, v6
	v_fmac_f32_e32 v46, v12, v6
	v_fma_f32 v47, v12, v7, -v0
	ds_read2_b64 v[10:13], v72 offset0:92 offset1:141
	s_waitcnt lgkmcnt(1)
	v_mul_f32_e32 v20, v149, v137
	v_accvgpr_read_b32 v19, a254
	v_fmac_f32_e32 v20, v148, v136
	ds_read2_b64 v[128:131], v72 offset0:190 offset1:239
	s_waitcnt lgkmcnt(1)
	v_mul_f32_e32 v0, v15, v10
	v_fma_f32 v49, v14, v11, -v0
	ds_read2_b64 v[0:3], v195 offset0:130 offset1:179
	v_mul_f32_e32 v31, v143, v13
	v_fmac_f32_e32 v31, v142, v12
	v_mul_f32_e32 v48, v15, v11
	v_fmac_f32_e32 v48, v14, v10
	s_waitcnt lgkmcnt(0)
	v_mul_f32_e32 v50, v161, v3
	v_fmac_f32_e32 v50, v160, v2
	v_mul_f32_e32 v2, v161, v2
	v_fma_f32 v51, v160, v3, -v2
	v_mul_f32_e32 v3, v151, v8
	v_fma_f32 v18, v150, v9, -v3
	;; [unrolled: 2-line block ×3, first 2 shown]
	v_mul_f32_e32 v3, v143, v12
	v_accvgpr_read_b32 v12, a101
	v_fma_f32 v34, v142, v13, -v3
	ds_read2_b64 v[142:145], v12 offset0:54 offset1:103
	ds_read2_b64 v[14:17], v194 offset0:10 offset1:59
	;; [unrolled: 1-line block ×3, first 2 shown]
	v_mov_b32_e32 v11, v154
	v_mov_b32_e32 v10, v156
	s_waitcnt lgkmcnt(2)
	v_mul_f32_e32 v35, v141, v143
	v_mul_f32_e32 v3, v141, v142
	s_waitcnt lgkmcnt(1)
	v_mul_f32_e32 v2, v163, v14
	v_fmac_f32_e32 v35, v140, v142
	v_fma_f32 v36, v140, v143, -v3
	ds_read2_b64 v[140:143], v67 offset0:100 offset1:149
	v_fma_f32 v53, v162, v15, -v2
	v_mul_f32_e32 v2, v151, v9
	v_fmac_f32_e32 v2, v150, v8
	v_accvgpr_read_b32 v6, a172
	v_accvgpr_read_b32 v9, a175
	;; [unrolled: 1-line block ×4, first 2 shown]
	v_mul_f32_e32 v3, v9, v16
	v_mul_f32_e32 v37, v9, v17
	v_fma_f32 v40, v8, v17, -v3
	s_waitcnt lgkmcnt(0)
	v_mul_f32_e32 v41, v7, v141
	v_mul_f32_e32 v3, v7, v140
	v_fmac_f32_e32 v37, v8, v16
	v_fmac_f32_e32 v41, v6, v140
	v_fma_f32 v42, v6, v141, -v3
	ds_read2_b64 v[6:9], v12 offset0:152 offset1:201
	v_mul_f32_e32 v52, v163, v15
	v_mul_f32_e32 v21, v155, v149
	v_fmac_f32_e32 v52, v162, v14
	v_fmac_f32_e32 v21, v154, v148
	v_mov_b32_e32 v154, v157
	s_waitcnt lgkmcnt(0)
	v_mov_b32_e32 v14, v7
	v_mov_b32_e32 v15, v148
	;; [unrolled: 1-line block ×4, first 2 shown]
	v_pk_mul_f32 v[14:15], v[154:155], v[14:15]
	v_pk_fma_f32 v[160:161], v[10:11], v[12:13], v[14:15] neg_lo:[0,0,1] neg_hi:[0,0,1]
	v_pk_fma_f32 v[140:141], v[156:157], v[6:7], v[14:15]
	ds_read2_b64 v[12:15], v71 offset0:106 offset1:155
	v_mov_b32_e32 v11, v156
	v_mov_b32_e32 v156, v153
	;; [unrolled: 1-line block ×4, first 2 shown]
	s_waitcnt lgkmcnt(0)
	v_mov_b32_e32 v22, v13
	v_pk_mul_f32 v[6:7], v[156:157], v[22:23]
	ds_read2_b64 v[22:25], v69 offset0:70 offset1:119
	ds_read2_b64 v[148:151], v194 offset0:108 offset1:157
	v_mov_b32_e32 v10, v152
	v_mov_b32_e32 v16, v12
	ds_read2_b64 v[54:57], v19 offset0:114 offset1:163
	s_waitcnt lgkmcnt(2)
	v_mul_f32_e32 v247, v63, v23
	v_pk_fma_f32 v[244:245], v[10:11], v[16:17], v[6:7]
	v_pk_fma_f32 v[242:243], v[10:11], v[16:17], v[6:7] neg_lo:[0,0,1] neg_hi:[0,0,1]
	v_mov_b32_e32 v7, v62
	v_fmac_f32_e32 v247, v62, v22
	v_mov_b32_e32 v62, v158
	v_mov_b32_e32 v16, v130
	;; [unrolled: 1-line block ×6, first 2 shown]
	v_pk_mul_f32 v[16:17], v[62:63], v[16:17]
	v_pk_fma_f32 v[250:251], v[6:7], v[10:11], v[16:17]
	v_pk_fma_f32 v[6:7], v[6:7], v[10:11], v[16:17] neg_lo:[0,0,1] neg_hi:[0,0,1]
	v_mov_b32_e32 v17, v158
	v_mov_b32_e32 v158, v65
	s_waitcnt lgkmcnt(1)
	v_mov_b32_e32 v10, v151
	v_mov_b32_e32 v11, v130
	v_pk_mul_f32 v[22:23], v[158:159], v[10:11]
	v_mov_b32_e32 v16, v64
	v_mov_b32_e32 v26, v150
	;; [unrolled: 1-line block ×3, first 2 shown]
	v_mul_f32_e32 v3, v153, v12
	v_pk_fma_f32 v[10:11], v[16:17], v[26:27], v[22:23]
	v_pk_fma_f32 v[158:159], v[16:17], v[26:27], v[22:23] neg_lo:[0,0,1] neg_hi:[0,0,1]
	v_fma_f32 v162, v152, v13, -v3
	v_mov_b32_e32 v12, v133
	v_mov_b32_e32 v13, v167
	;; [unrolled: 1-line block ×3, first 2 shown]
	s_waitcnt lgkmcnt(0)
	v_mov_b32_e32 v17, v54
	v_pk_mul_f32 v[12:13], v[12:13], v[16:17]
	v_mov_b32_e32 v16, v132
	v_mov_b32_e32 v17, v166
	v_mov_b32_e32 v22, v8
	v_mov_b32_e32 v23, v55
	v_pk_fma_f32 v[22:23], v[16:17], v[22:23], v[12:13] neg_lo:[0,0,1] neg_hi:[0,0,1]
	v_pk_fma_f32 v[16:17], v[132:133], v[8:9], v[12:13]
	v_mov_b32_e32 v13, v8
	v_mov_b32_e32 v12, v15
	v_mul_f32_e32 v3, v165, v14
	v_mov_b32_e32 v26, v165
	v_mov_b32_e32 v27, v133
	;; [unrolled: 1-line block ×3, first 2 shown]
	v_fma_f32 v160, v164, v15, -v3
	v_mov_b32_e32 v14, v164
	v_pk_mul_f32 v[12:13], v[26:27], v[12:13]
	v_mov_b32_e32 v15, v132
	v_pk_fma_f32 v[156:157], v[14:15], v[8:9], v[12:13]
	v_pk_fma_f32 v[152:153], v[14:15], v[8:9], v[12:13] neg_lo:[0,0,1] neg_hi:[0,0,1]
	ds_read2_b64 v[12:15], v195 offset0:32 offset1:81
	v_mul_f32_e32 v43, v167, v55
	v_mul_f32_e32 v167, v185, v25
	v_fmac_f32_e32 v167, v184, v24
	v_mov_b32_e32 v9, v25
	v_mov_b32_e32 v25, v24
	;; [unrolled: 1-line block ×4, first 2 shown]
	s_waitcnt lgkmcnt(0)
	v_mov_b32_e32 v24, v12
	v_pk_mul_f32 v[24:25], v[26:27], v[24:25]
	v_mov_b32_e32 v26, v135
	v_mov_b32_e32 v27, v184
	;; [unrolled: 1-line block ×3, first 2 shown]
	v_pk_fma_f32 v[184:185], v[26:27], v[8:9], v[24:25]
	v_pk_fma_f32 v[248:249], v[26:27], v[8:9], v[24:25] neg_lo:[0,0,1] neg_hi:[0,0,1]
	ds_read2_b64 v[24:27], v194 offset0:206 offset1:255
	ds_read2_b64 v[58:61], v70 offset0:76 offset1:125
	;; [unrolled: 1-line block ×4, first 2 shown]
	v_mov_b32_e32 v9, v134
	v_mov_b32_e32 v134, v187
	s_waitcnt lgkmcnt(3)
	v_mov_b32_e32 v32, v25
	v_mov_b32_e32 v33, v12
	v_pk_mul_f32 v[32:33], v[134:135], v[32:33]
	v_mov_b32_e32 v8, v186
	v_mov_b32_e32 v12, v24
	v_pk_fma_f32 v[254:255], v[8:9], v[12:13], v[32:33]
	v_pk_fma_f32 v[252:253], v[8:9], v[12:13], v[32:33] neg_lo:[0,0,1] neg_hi:[0,0,1]
	v_mov_b32_e32 v8, v169
	v_mov_b32_e32 v9, v189
	s_waitcnt lgkmcnt(2)
	v_mov_b32_e32 v12, v59
	s_waitcnt lgkmcnt(1)
	v_mov_b32_e32 v13, v76
	v_pk_mul_f32 v[8:9], v[8:9], v[12:13]
	v_mov_b32_e32 v32, v168
	v_mov_b32_e32 v33, v188
	;; [unrolled: 1-line block ×4, first 2 shown]
	v_pk_fma_f32 v[12:13], v[32:33], v[38:39], v[8:9]
	v_pk_fma_f32 v[8:9], v[32:33], v[38:39], v[8:9] neg_lo:[0,0,1] neg_hi:[0,0,1]
	v_mov_b32_e32 v32, v190
	v_mov_b32_e32 v33, v181
	;; [unrolled: 1-line block ×3, first 2 shown]
	s_waitcnt lgkmcnt(0)
	v_mov_b32_e32 v39, v130
	v_fmac_f32_e32 v43, v166, v54
	v_pk_mul_f32 v[38:39], v[32:33], v[38:39]
	v_mov_b32_e32 v54, v191
	v_mov_b32_e32 v55, v180
	;; [unrolled: 1-line block ×4, first 2 shown]
	v_mul_f32_e32 v155, v171, v57
	v_pk_fma_f32 v[32:33], v[54:55], v[62:63], v[38:39]
	v_pk_fma_f32 v[74:75], v[54:55], v[62:63], v[38:39] neg_lo:[0,0,1] neg_hi:[0,0,1]
	v_fmac_f32_e32 v155, v170, v56
	v_mov_b32_e32 v39, v57
	v_mov_b32_e32 v55, v56
	v_mov_b32_e32 v56, v189
	v_mov_b32_e32 v57, v171
	v_mov_b32_e32 v54, v77
	v_pk_mul_f32 v[54:55], v[56:57], v[54:55]
	v_mov_b32_e32 v56, v188
	v_mov_b32_e32 v57, v170
	;; [unrolled: 1-line block ×3, first 2 shown]
	v_mul_f32_e32 v3, v187, v24
	v_pk_fma_f32 v[170:171], v[56:57], v[38:39], v[54:55] neg_lo:[0,0,1] neg_hi:[0,0,1]
	v_mov_b32_e32 v39, v190
	v_mov_b32_e32 v190, v183
	v_pk_fma_f32 v[164:165], v[188:189], v[76:77], v[54:55]
	v_mov_b32_e32 v54, v27
	v_mov_b32_e32 v55, v14
	v_fma_f32 v158, v186, v25, -v3
	v_mul_f32_e32 v3, v183, v26
	v_pk_mul_f32 v[54:55], v[190:191], v[54:55]
	v_mov_b32_e32 v38, v182
	v_fma_f32 v152, v182, v27, -v3
	v_mov_b32_e32 v14, v26
	v_mul_f32_e32 v3, v169, v58
	v_pk_fma_f32 v[186:187], v[38:39], v[14:15], v[54:55]
	v_pk_fma_f32 v[182:183], v[38:39], v[14:15], v[54:55] neg_lo:[0,0,1] neg_hi:[0,0,1]
	v_fma_f32 v6, v168, v59, -v3
	v_mul_f32_e32 v3, v179, v5
	v_mov_b32_e32 v15, v4
	v_mov_b32_e32 v24, v173
	;; [unrolled: 1-line block ×4, first 2 shown]
	v_fmac_f32_e32 v3, v178, v4
	v_pk_mul_f32 v[14:15], v[24:25], v[14:15]
	v_mov_b32_e32 v24, v172
	v_mov_b32_e32 v25, v178
	;; [unrolled: 1-line block ×3, first 2 shown]
	v_pk_fma_f32 v[178:179], v[24:25], v[4:5], v[14:15] neg_lo:[0,0,1] neg_hi:[0,0,1]
	v_pk_fma_f32 v[4:5], v[172:173], v[78:79], v[14:15]
	v_mov_b32_e32 v15, v78
	v_mov_b32_e32 v14, v61
	;; [unrolled: 1-line block ×7, first 2 shown]
	v_pk_mul_f32 v[38:39], v[38:39], v[14:15]
	v_mov_b32_e32 v27, v172
	v_pk_fma_f32 v[14:15], v[26:27], v[24:25], v[38:39]
	v_pk_fma_f32 v[172:173], v[26:27], v[24:25], v[38:39] neg_lo:[0,0,1] neg_hi:[0,0,1]
	v_mov_b32_e32 v27, v132
	v_mov_b32_e32 v38, v174
	;; [unrolled: 1-line block ×4, first 2 shown]
	v_mul_f32_e32 v5, v177, v60
	v_mov_b32_e32 v25, v133
	v_pk_mul_f32 v[26:27], v[38:39], v[26:27]
	v_mov_b32_e32 v54, v175
	v_mov_b32_e32 v55, v196
	;; [unrolled: 1-line block ×3, first 2 shown]
	v_fma_f32 v8, v176, v61, -v5
	v_pk_fma_f32 v[38:39], v[54:55], v[24:25], v[26:27]
	v_pk_fma_f32 v[176:177], v[54:55], v[24:25], v[26:27] neg_lo:[0,0,1] neg_hi:[0,0,1]
	ds_read_b64 v[26:27], v193 offset:18816
	v_mov_b32_e32 v25, v174
	v_mov_b32_e32 v174, v199
	v_mov_b32_e32 v55, v0
	v_mov_b32_e32 v24, v198
	s_waitcnt lgkmcnt(0)
	v_mov_b32_e32 v54, v27
	v_mul_f32_e32 v0, v199, v26
	v_pk_mul_f32 v[54:55], v[174:175], v[54:55]
	v_fma_f32 v22, v198, v27, -v0
	v_mov_b32_e32 v27, v1
	v_add_f32_e32 v15, v29, v53
	v_add_f32_e32 v17, v45, v51
	v_pk_fma_f32 v[168:169], v[24:25], v[26:27], v[54:55]
	v_pk_fma_f32 v[0:1], v[24:25], v[26:27], v[54:55] neg_lo:[0,0,1] neg_hi:[0,0,1]
	v_add_f32_e32 v33, v47, v49
	v_add_f32_e32 v24, v17, v15
	;; [unrolled: 1-line block ×3, first 2 shown]
	ds_read2_b64 v[24:27], v193 offset1:49
	v_add_f32_e32 v0, v28, v52
	v_add_f32_e32 v5, v44, v50
	;; [unrolled: 1-line block ×5, first 2 shown]
	s_waitcnt lgkmcnt(0)
	v_add_f32_e32 v24, v13, v24
	v_add_f32_e32 v25, v39, v25
	v_sub_f32_e32 v28, v28, v52
	v_sub_f32_e32 v44, v44, v50
	;; [unrolled: 1-line block ×10, first 2 shown]
	v_mov_b32_e32 v52, v24
	v_sub_f32_e32 v29, v29, v53
	v_sub_f32_e32 v17, v33, v17
	v_add_f32_e32 v33, v46, v44
	v_sub_f32_e32 v49, v46, v44
	v_sub_f32_e32 v50, v47, v45
	v_fmac_f32_e32 v52, 0xbf955555, v13
	v_mov_b32_e32 v13, v25
	v_mul_f32_e32 v15, 0x3f4a47b2, v15
	v_sub_f32_e32 v46, v28, v46
	v_sub_f32_e32 v44, v44, v28
	v_add_f32_e32 v33, v33, v28
	v_add_f32_e32 v28, v47, v45
	v_sub_f32_e32 v47, v29, v47
	v_sub_f32_e32 v45, v45, v29
	v_fmac_f32_e32 v13, 0xbf955555, v39
	v_mul_f32_e32 v0, 0x3f4a47b2, v0
	v_mul_f32_e32 v39, 0x3f08b237, v49
	v_mul_f32_e32 v49, 0x3f08b237, v50
	v_fma_f32 v53, v11, s7, -v15
	v_fmac_f32_e32 v15, 0x3d64c772, v17
	v_mul_f32_e32 v17, 0x3d64c772, v17
	v_add_f32_e32 v51, v28, v29
	v_fma_f32 v50, v48, s7, -v0
	v_fmac_f32_e32 v0, 0x3d64c772, v5
	v_fma_f32 v62, v44, s8, -v39
	v_fmac_f32_e32 v39, 0xbeae86e6, v46
	;; [unrolled: 2-line block ×3, first 2 shown]
	v_mul_f32_e32 v5, 0x3d64c772, v5
	v_fma_f32 v11, v11, s6, -v17
	v_mul_f32_e32 v17, 0x3f5ff5aa, v44
	v_mul_f32_e32 v44, 0x3f5ff5aa, v45
	v_add_f32_e32 v0, v0, v52
	v_add_f32_e32 v15, v15, v13
	v_fmac_f32_e32 v39, 0xbee1c552, v33
	v_fmac_f32_e32 v49, 0xbee1c552, v51
	v_fma_f32 v5, v48, s6, -v5
	v_fmac_f32_e32 v17, 0x3eae86e6, v46
	v_fmac_f32_e32 v44, 0x3eae86e6, v47
	v_mul_f32_e32 v181, v181, v131
	v_mul_f32_e32 v19, v197, v133
	v_add_f32_e32 v28, v49, v0
	v_sub_f32_e32 v29, v15, v39
	v_add_f32_e32 v5, v5, v52
	v_add_f32_e32 v45, v50, v52
	;; [unrolled: 1-line block ×4, first 2 shown]
	v_fmac_f32_e32 v62, 0xbee1c552, v33
	v_fmac_f32_e32 v17, 0xbee1c552, v33
	;; [unrolled: 1-line block ×6, first 2 shown]
	v_add_f32_e32 v54, v20, v37
	v_add_f32_e32 v55, v2, v41
	;; [unrolled: 1-line block ×4, first 2 shown]
	ds_read2_b64 v[134:137], v193 offset0:98 offset1:147
	ds_read2_b64 v[130:133], v193 offset0:196 offset1:245
	s_waitcnt lgkmcnt(0)
	; wave barrier
	s_waitcnt lgkmcnt(0)
	ds_write2_b64 v66, v[24:25], v[28:29] offset1:7
	v_add_f32_e32 v24, v44, v45
	v_sub_f32_e32 v25, v13, v17
	v_sub_f32_e32 v28, v5, v63
	v_add_f32_e32 v29, v62, v11
	v_add_f32_e32 v56, v35, v31
	;; [unrolled: 1-line block ×5, first 2 shown]
	ds_write2_b64 v66, v[24:25], v[28:29] offset0:14 offset1:21
	v_add_f32_e32 v24, v63, v5
	v_sub_f32_e32 v25, v11, v62
	v_sub_f32_e32 v28, v45, v44
	v_add_f32_e32 v29, v17, v13
	v_accvgpr_read_b32 v5, a209
	v_add_f32_e32 v57, v56, v57
	v_add_f32_e32 v61, v60, v61
	ds_write2_b64 v5, v[24:25], v[28:29] offset0:28 offset1:35
	v_sub_f32_e32 v24, v0, v49
	v_add_f32_e32 v25, v39, v15
	v_sub_f32_e32 v2, v2, v41
	v_sub_f32_e32 v11, v18, v42
	;; [unrolled: 1-line block ×5, first 2 shown]
	v_add_f32_e32 v26, v57, v26
	v_add_f32_e32 v27, v61, v27
	ds_write_b64 v5, v[24:25] offset:336
	v_sub_f32_e32 v0, v20, v37
	v_sub_f32_e32 v5, v30, v40
	;; [unrolled: 1-line block ×5, first 2 shown]
	v_add_f32_e32 v25, v13, v2
	v_sub_f32_e32 v30, v13, v2
	v_sub_f32_e32 v31, v15, v11
	v_mul_f32_e32 v18, 0x3f4a47b2, v18
	v_sub_f32_e32 v28, v59, v58
	v_sub_f32_e32 v29, v60, v59
	;; [unrolled: 1-line block ×4, first 2 shown]
	v_add_f32_e32 v0, v25, v0
	v_add_f32_e32 v25, v15, v11
	v_sub_f32_e32 v15, v5, v15
	v_sub_f32_e32 v11, v11, v5
	v_mov_b32_e32 v33, v26
	v_mov_b32_e32 v34, v27
	v_mul_f32_e32 v24, 0x3f4a47b2, v24
	v_mul_f32_e32 v35, 0x3f08b237, v30
	;; [unrolled: 1-line block ×3, first 2 shown]
	v_fma_f32 v30, v17, s7, -v18
	v_fmac_f32_e32 v18, 0x3d64c772, v20
	v_mul_f32_e32 v20, 0x3d64c772, v20
	v_add_f32_e32 v5, v25, v5
	v_fmac_f32_e32 v33, 0xbf955555, v57
	v_fmac_f32_e32 v34, 0xbf955555, v61
	v_fma_f32 v31, v28, s7, -v24
	v_fmac_f32_e32 v24, 0x3d64c772, v29
	v_fma_f32 v36, v2, s8, -v35
	;; [unrolled: 2-line block ×4, first 2 shown]
	v_mul_f32_e32 v20, 0x3d64c772, v29
	v_mul_f32_e32 v2, 0x3f5ff5aa, v2
	;; [unrolled: 1-line block ×3, first 2 shown]
	v_add_f32_e32 v18, v18, v33
	v_add_f32_e32 v42, v24, v34
	v_fmac_f32_e32 v35, 0xbee1c552, v0
	v_fmac_f32_e32 v39, 0xbee1c552, v5
	v_fma_f32 v20, v28, s6, -v20
	v_fmac_f32_e32 v2, 0x3eae86e6, v13
	v_fmac_f32_e32 v11, 0x3eae86e6, v15
	v_add_f32_e32 v24, v39, v18
	v_sub_f32_e32 v25, v42, v35
	v_accvgpr_read_b32 v40, a210
	v_add_f32_e32 v13, v17, v33
	v_add_f32_e32 v15, v30, v33
	;; [unrolled: 1-line block ×4, first 2 shown]
	v_fmac_f32_e32 v36, 0xbee1c552, v0
	v_fmac_f32_e32 v2, 0xbee1c552, v0
	v_fmac_f32_e32 v37, 0xbee1c552, v5
	v_fmac_f32_e32 v11, 0xbee1c552, v5
	ds_write2_b64 v40, v[26:27], v[24:25] offset1:7
	v_add_f32_e32 v24, v11, v15
	v_sub_f32_e32 v25, v20, v2
	v_sub_f32_e32 v26, v13, v37
	v_add_f32_e32 v27, v36, v17
	v_accvgpr_read_b32 v0, a210
	v_accvgpr_read_b32 v44, a108
	ds_write2_b64 v0, v[24:25], v[26:27] offset0:14 offset1:21
	v_add_f32_e32 v24, v37, v13
	v_sub_f32_e32 v25, v17, v36
	v_sub_f32_e32 v26, v15, v11
	v_add_f32_e32 v27, v2, v20
	v_accvgpr_read_b32 v47, a111
	ds_write2_b64 v0, v[24:25], v[26:27] offset0:28 offset1:35
	v_accvgpr_read_b32 v46, a110
	v_mul_f32_e32 v25, v47, v147
	v_fmac_f32_e32 v25, v46, v146
	v_mov_b32_e32 v29, v146
	v_mov_b32_e32 v31, v46
	;; [unrolled: 1-line block ×4, first 2 shown]
	v_accvgpr_read_b32 v45, a109
	v_mov_b32_e32 v27, v147
	v_mov_b32_e32 v30, v110
	;; [unrolled: 1-line block ×3, first 2 shown]
	v_pk_mul_f32 v[28:29], v[46:47], v[28:29]
	v_pk_fma_f32 v[26:27], v[30:31], v[26:27], v[28:29] neg_lo:[0,0,1] neg_hi:[0,0,1]
	v_pk_fma_f32 v[28:29], v[110:111], v[144:145], v[28:29]
	v_mov_b32_e32 v31, v110
	v_mov_b32_e32 v110, v45
	;; [unrolled: 1-line block ×4, first 2 shown]
	v_accvgpr_read_b32 v50, a104
	v_mov_b32_e32 v30, v44
	v_mul_f32_e32 v0, v45, v138
	v_mov_b32_e32 v36, v138
	v_mov_b32_e32 v37, v145
	v_pk_mul_f32 v[40:41], v[110:111], v[40:41]
	v_accvgpr_read_b32 v51, a105
	v_fma_f32 v34, v44, v139, -v0
	v_pk_fma_f32 v[44:45], v[30:31], v[36:37], v[40:41]
	v_pk_fma_f32 v[30:31], v[30:31], v[36:37], v[40:41] neg_lo:[0,0,1] neg_hi:[0,0,1]
	v_mul_f32_e32 v37, v51, v143
	v_fmac_f32_e32 v37, v50, v142
	v_mov_b32_e32 v47, v142
	v_mov_b32_e32 v49, v50
	;; [unrolled: 1-line block ×4, first 2 shown]
	v_accvgpr_read_b32 v53, a107
	v_mov_b32_e32 v41, v143
	v_mov_b32_e32 v48, v113
	;; [unrolled: 1-line block ×3, first 2 shown]
	v_pk_mul_f32 v[46:47], v[50:51], v[46:47]
	v_accvgpr_read_b32 v52, a106
	v_pk_fma_f32 v[50:51], v[48:49], v[40:41], v[46:47]
	v_pk_fma_f32 v[40:41], v[48:49], v[40:41], v[46:47] neg_lo:[0,0,1] neg_hi:[0,0,1]
	v_mov_b32_e32 v47, v112
	v_mov_b32_e32 v112, v53
	;; [unrolled: 1-line block ×4, first 2 shown]
	v_pk_mul_f32 v[48:49], v[112:113], v[48:49]
	v_mov_b32_e32 v46, v52
	v_mov_b32_e32 v54, v148
	;; [unrolled: 1-line block ×3, first 2 shown]
	v_mul_f32_e32 v0, v53, v148
	v_pk_fma_f32 v[56:57], v[46:47], v[54:55], v[48:49]
	v_pk_fma_f32 v[46:47], v[46:47], v[54:55], v[48:49] neg_lo:[0,0,1] neg_hi:[0,0,1]
	v_accvgpr_read_b32 v2, a210
	v_fma_f32 v52, v52, v149, -v0
	v_sub_f32_e32 v48, v18, v39
	v_add_f32_e32 v49, v35, v42
	v_mov_b32_e32 v35, v44
	v_mov_b32_e32 v53, v56
	;; [unrolled: 1-line block ×12, first 2 shown]
	ds_write_b64 v2, v[48:49] offset:336
	v_add_f32_e32 v49, v34, v52
	v_pk_add_f32 v[34:35], v[34:35], v[52:53] neg_lo:[0,1] neg_hi:[0,1]
	v_add_f32_e32 v30, v25, v37
	v_pk_add_f32 v[24:25], v[24:25], v[36:37] neg_lo:[0,1] neg_hi:[0,1]
	v_pk_add_f32 v[36:37], v[44:45], v[56:57]
	v_pk_add_f32 v[44:45], v[28:29], v[50:51]
	v_pk_add_f32 v[28:29], v[40:41], v[46:47] neg_lo:[0,1] neg_hi:[0,1]
	v_mov_b32_e32 v40, v28
	v_mov_b32_e32 v41, v35
	;; [unrolled: 1-line block ×4, first 2 shown]
	v_mul_f32_e32 v0, v65, v150
	v_pk_add_f32 v[40:41], v[40:41], v[46:47] neg_lo:[0,1] neg_hi:[0,1]
	v_mov_b32_e32 v46, v34
	v_pk_add_f32 v[50:51], v[28:29], v[24:25]
	v_mov_b32_e32 v29, v25
	v_mov_b32_e32 v31, v45
	;; [unrolled: 1-line block ×3, first 2 shown]
	v_fma_f32 v26, v64, v151, -v0
	v_pk_add_f32 v[28:29], v[46:47], v[28:29] neg_lo:[0,1] neg_hi:[0,1]
	v_pk_add_f32 v[46:47], v[30:31], v[48:49]
	v_mov_b32_e32 v48, v44
	v_sub_f32_e32 v0, v45, v49
	v_pk_add_f32 v[52:53], v[36:37], v[44:45] neg_lo:[0,1] neg_hi:[0,1]
	v_mov_b32_e32 v45, v37
	v_mov_b32_e32 v31, v37
	v_pk_mul_f32 v[40:41], v[40:41], s[20:21]
	v_pk_add_f32 v[44:45], v[44:45], v[46:47]
	v_pk_add_f32 v[46:47], v[48:49], v[30:31] neg_lo:[0,1] neg_hi:[0,1]
	v_pk_fma_f32 v[56:57], v[28:29], s[14:15], v[40:41]
	v_pk_add_f32 v[24:25], v[24:25], v[34:35] neg_lo:[0,1] neg_hi:[0,1]
	v_pk_mul_f32 v[28:29], v[28:29], s[14:15]
	v_pk_add_f32 v[48:49], v[50:51], v[34:35]
	v_pk_mul_f32 v[46:47], v[46:47], s[10:11]
	v_pk_add_f32 v[50:51], v[44:45], v[134:135]
	v_sub_f32_e32 v2, v30, v36
	v_fma_f32 v5, v24, s8, -v40
	v_fma_f32 v11, v25, s9, -v41
	;; [unrolled: 1-line block ×4, first 2 shown]
	v_pk_mul_f32 v[24:25], v[52:53], s[16:17]
	v_pk_fma_f32 v[44:45], v[44:45], s[18:19], v[50:51] op_sel_hi:[1,0,1] neg_lo:[1,0,0] neg_hi:[1,0,0]
	v_pk_fma_f32 v[54:55], v[52:53], s[16:17], v[46:47]
	v_fma_f32 v17, v0, s6, -v25
	v_fma_f32 v18, v2, s7, -v24
	;; [unrolled: 1-line block ×4, first 2 shown]
	v_pk_mul_f32 v[24:25], v[48:49], s[12:13] op_sel_hi:[1,0]
	v_pk_add_f32 v[54:55], v[54:55], v[44:45]
	v_pk_fma_f32 v[56:57], v[48:49], s[12:13], v[56:57] op_sel_hi:[1,0,1]
	v_add_f32_e32 v2, v2, v44
	v_add_f32_e32 v17, v17, v45
	v_add_f32_e32 v18, v18, v44
	v_add_f32_e32 v0, v0, v45
	v_add_f32_e32 v13, v25, v13
	v_add_f32_e32 v5, v24, v5
	v_add_f32_e32 v11, v25, v11
	v_add_f32_e32 v15, v24, v15
	v_pk_add_f32 v[58:59], v[54:55], v[56:57]
	v_pk_add_f32 v[54:55], v[54:55], v[56:57] neg_lo:[0,1] neg_hi:[0,1]
	v_accvgpr_read_b32 v20, a205
	v_add_f32_e32 v24, v15, v18
	v_sub_f32_e32 v25, v0, v11
	v_sub_f32_e32 v28, v2, v5
	v_add_f32_e32 v29, v13, v17
	v_mov_b32_e32 v56, v58
	v_mov_b32_e32 v57, v55
	ds_write2_b64 v20, v[24:25], v[28:29] offset0:14 offset1:21
	v_add_f32_e32 v24, v5, v2
	v_sub_f32_e32 v25, v17, v13
	v_sub_f32_e32 v28, v18, v15
	v_add_f32_e32 v29, v11, v0
	v_mov_b32_e32 v55, v59
	v_mov_b32_e32 v141, v161
	v_mov_b32_e32 v251, v7
	v_mov_b32_e32 v245, v243
	v_mov_b32_e32 v11, v159
	ds_write2_b64 v20, v[50:51], v[56:57] offset1:7
	ds_write2_b64 v20, v[24:25], v[28:29] offset0:28 offset1:35
	ds_write_b64 v20, v[54:55] offset:336
	v_mov_b32_e32 v163, v244
	v_mov_b32_e32 v27, v10
	v_add_f32_e32 v25, v162, v26
	v_mov_b32_e32 v20, v161
	v_mov_b32_e32 v246, v7
	v_add_f32_e32 v28, v21, v247
	v_pk_add_f32 v[10:11], v[244:245], v[10:11]
	v_mov_b32_e32 v30, v159
	v_mov_b32_e32 v31, v250
	v_pk_add_f32 v[34:35], v[140:141], v[250:251]
	v_mov_b32_e32 v36, v243
	v_mov_b32_e32 v37, v140
	v_pk_add_f32 v[26:27], v[162:163], v[26:27] neg_lo:[0,1] neg_hi:[0,1]
	v_pk_add_f32 v[20:21], v[20:21], v[246:247] neg_lo:[0,1] neg_hi:[0,1]
	;; [unrolled: 1-line block ×3, first 2 shown]
	v_mov_b32_e32 v36, v34
	v_mov_b32_e32 v37, v25
	;; [unrolled: 1-line block ×4, first 2 shown]
	v_pk_add_f32 v[36:37], v[36:37], v[40:41] neg_lo:[0,1] neg_hi:[0,1]
	v_mov_b32_e32 v40, v30
	v_mov_b32_e32 v41, v27
	;; [unrolled: 1-line block ×4, first 2 shown]
	v_pk_add_f32 v[40:41], v[40:41], v[44:45] neg_lo:[0,1] neg_hi:[0,1]
	v_mov_b32_e32 v44, v26
	v_pk_add_f32 v[46:47], v[30:31], v[20:21]
	v_mov_b32_e32 v31, v21
	v_mov_b32_e32 v29, v35
	;; [unrolled: 1-line block ×3, first 2 shown]
	v_pk_add_f32 v[30:31], v[44:45], v[30:31] neg_lo:[0,1] neg_hi:[0,1]
	v_pk_add_f32 v[44:45], v[10:11], v[34:35] neg_lo:[0,1] neg_hi:[0,1]
	v_mov_b32_e32 v35, v11
	v_pk_add_f32 v[10:11], v[28:29], v[24:25]
	v_pk_add_f32 v[10:11], v[34:35], v[10:11]
	;; [unrolled: 1-line block ×3, first 2 shown]
	v_pk_mul_f32 v[36:37], v[36:37], s[10:11]
	v_pk_mul_f32 v[40:41], v[40:41], s[20:21]
	v_pk_add_f32 v[46:47], v[46:47], v[26:27]
	v_pk_fma_f32 v[10:11], v[10:11], s[18:19], v[34:35] op_sel_hi:[1,0,1] neg_lo:[1,0,0] neg_hi:[1,0,0]
	v_pk_fma_f32 v[48:49], v[44:45], s[16:17], v[36:37]
	v_pk_fma_f32 v[50:51], v[30:31], s[14:15], v[40:41]
	v_pk_add_f32 v[48:49], v[48:49], v[10:11]
	v_pk_fma_f32 v[50:51], v[46:47], s[12:13], v[50:51] op_sel_hi:[1,0,1]
	v_pk_add_f32 v[52:53], v[48:49], v[50:51]
	v_pk_add_f32 v[48:49], v[48:49], v[50:51] neg_lo:[0,1] neg_hi:[0,1]
	v_mov_b32_e32 v50, v52
	v_mov_b32_e32 v51, v49
	v_accvgpr_read_b32 v0, a203
	v_pk_add_f32 v[24:25], v[28:29], v[24:25] neg_lo:[0,1] neg_hi:[0,1]
	v_pk_add_f32 v[20:21], v[20:21], v[26:27] neg_lo:[0,1] neg_hi:[0,1]
	v_pk_mul_f32 v[26:27], v[44:45], s[16:17]
	v_pk_mul_f32 v[28:29], v[30:31], s[14:15]
	ds_write2_b64 v0, v[34:35], v[50:51] offset1:7
	v_mov_b32_e32 v30, v26
	v_mov_b32_e32 v31, v37
	;; [unrolled: 1-line block ×6, first 2 shown]
	v_pk_fma_f32 v[30:31], v[24:25], s[6:7], v[30:31] op_sel_hi:[1,0,1] neg_lo:[1,0,1] neg_hi:[1,0,1]
	v_pk_fma_f32 v[34:35], v[20:21], s[8:9], v[34:35] op_sel_hi:[1,0,1] neg_lo:[1,0,1] neg_hi:[1,0,1]
	;; [unrolled: 1-line block ×4, first 2 shown]
	v_pk_add_f32 v[30:31], v[30:31], v[10:11]
	v_pk_fma_f32 v[34:35], v[46:47], s[12:13], v[34:35] op_sel_hi:[1,0,1]
	v_pk_add_f32 v[10:11], v[24:25], v[10:11]
	v_pk_fma_f32 v[20:21], v[46:47], s[12:13], v[20:21] op_sel_hi:[1,0,1]
	v_pk_add_f32 v[44:45], v[30:31], v[34:35]
	v_pk_add_f32 v[30:31], v[30:31], v[34:35] neg_lo:[0,1] neg_hi:[0,1]
	v_pk_add_f32 v[24:25], v[10:11], v[20:21] neg_lo:[0,1] neg_hi:[0,1]
	v_pk_add_f32 v[10:11], v[10:11], v[20:21]
	v_mov_b32_e32 v21, v31
	v_mov_b32_e32 v27, v11
	;; [unrolled: 1-line block ×10, first 2 shown]
	ds_write2_b64 v0, v[10:11], v[30:31] offset0:28 offset1:35
	v_mov_b32_e32 v161, v156
	v_mov_b32_e32 v159, v254
	v_add_f32_e32 v11, v160, v158
	v_mov_b32_e32 v42, v23
	v_mov_b32_e32 v166, v249
	v_add_f32_e32 v24, v43, v167
	v_pk_add_f32 v[28:29], v[156:157], v[254:255]
	v_mov_b32_e32 v30, v253
	v_mov_b32_e32 v31, v184
	v_pk_add_f32 v[34:35], v[16:17], v[184:185]
	v_mov_b32_e32 v36, v153
	v_mov_b32_e32 v37, v16
	ds_write2_b64 v0, v[20:21], v[26:27] offset0:14 offset1:21
	v_pk_add_f32 v[20:21], v[160:161], v[158:159] neg_lo:[0,1] neg_hi:[0,1]
	v_pk_add_f32 v[26:27], v[42:43], v[166:167] neg_lo:[0,1] neg_hi:[0,1]
	;; [unrolled: 1-line block ×3, first 2 shown]
	v_mov_b32_e32 v30, v34
	v_mov_b32_e32 v31, v11
	;; [unrolled: 1-line block ×4, first 2 shown]
	v_pk_add_f32 v[30:31], v[30:31], v[36:37] neg_lo:[0,1] neg_hi:[0,1]
	v_mov_b32_e32 v36, v16
	v_mov_b32_e32 v37, v21
	;; [unrolled: 1-line block ×4, first 2 shown]
	v_pk_add_f32 v[36:37], v[36:37], v[40:41] neg_lo:[0,1] neg_hi:[0,1]
	v_mov_b32_e32 v40, v20
	v_pk_add_f32 v[42:43], v[16:17], v[26:27]
	v_mov_b32_e32 v17, v27
	v_mov_b32_e32 v25, v35
	;; [unrolled: 1-line block ×3, first 2 shown]
	v_pk_add_f32 v[16:17], v[40:41], v[16:17] neg_lo:[0,1] neg_hi:[0,1]
	v_pk_add_f32 v[40:41], v[28:29], v[34:35] neg_lo:[0,1] neg_hi:[0,1]
	v_mov_b32_e32 v35, v29
	v_pk_add_f32 v[28:29], v[24:25], v[10:11]
	v_pk_add_f32 v[28:29], v[34:35], v[28:29]
	;; [unrolled: 1-line block ×3, first 2 shown]
	v_pk_mul_f32 v[30:31], v[30:31], s[10:11]
	v_pk_mul_f32 v[36:37], v[36:37], s[20:21]
	v_pk_add_f32 v[42:43], v[28:29], v[130:131]
	v_pk_fma_f32 v[28:29], v[28:29], s[18:19], v[42:43] op_sel_hi:[1,0,1] neg_lo:[1,0,0] neg_hi:[1,0,0]
	v_pk_fma_f32 v[44:45], v[40:41], s[16:17], v[30:31]
	v_pk_fma_f32 v[46:47], v[16:17], s[14:15], v[36:37]
	v_pk_add_f32 v[10:11], v[24:25], v[10:11] neg_lo:[0,1] neg_hi:[0,1]
	v_pk_mul_f32 v[24:25], v[40:41], s[16:17]
	v_pk_mul_f32 v[16:17], v[16:17], s[14:15]
	v_mov_b32_e32 v49, v53
	v_pk_add_f32 v[44:45], v[44:45], v[28:29]
	v_pk_fma_f32 v[46:47], v[34:35], s[12:13], v[46:47] op_sel_hi:[1,0,1]
	v_pk_add_f32 v[20:21], v[26:27], v[20:21] neg_lo:[0,1] neg_hi:[0,1]
	v_mov_b32_e32 v26, v24
	v_mov_b32_e32 v27, v31
	;; [unrolled: 1-line block ×6, first 2 shown]
	ds_write_b64 v0, v[48:49] offset:336
	v_pk_add_f32 v[48:49], v[44:45], v[46:47]
	v_pk_add_f32 v[44:45], v[44:45], v[46:47] neg_lo:[0,1] neg_hi:[0,1]
	v_pk_fma_f32 v[26:27], v[10:11], s[6:7], v[26:27] op_sel_hi:[1,0,1] neg_lo:[1,0,1] neg_hi:[1,0,1]
	v_pk_fma_f32 v[40:41], v[20:21], s[8:9], v[40:41] op_sel_hi:[1,0,1] neg_lo:[1,0,1] neg_hi:[1,0,1]
	;; [unrolled: 1-line block ×4, first 2 shown]
	v_mov_b32_e32 v46, v48
	v_mov_b32_e32 v47, v45
	v_accvgpr_read_b32 v0, a202
	v_pk_add_f32 v[26:27], v[26:27], v[28:29]
	v_pk_fma_f32 v[40:41], v[34:35], s[12:13], v[40:41] op_sel_hi:[1,0,1]
	v_pk_add_f32 v[10:11], v[10:11], v[28:29]
	v_pk_fma_f32 v[16:17], v[34:35], s[12:13], v[16:17] op_sel_hi:[1,0,1]
	ds_write2_b64 v0, v[42:43], v[46:47] offset1:7
	v_pk_add_f32 v[42:43], v[26:27], v[40:41]
	v_pk_add_f32 v[26:27], v[26:27], v[40:41] neg_lo:[0,1] neg_hi:[0,1]
	v_pk_add_f32 v[20:21], v[10:11], v[16:17] neg_lo:[0,1] neg_hi:[0,1]
	v_pk_add_f32 v[10:11], v[10:11], v[16:17]
	v_mov_b32_e32 v16, v42
	v_mov_b32_e32 v17, v27
	;; [unrolled: 1-line block ×10, first 2 shown]
	ds_write2_b64 v0, v[16:17], v[24:25] offset0:14 offset1:21
	ds_write2_b64 v0, v[10:11], v[26:27] offset0:28 offset1:35
	v_mov_b32_e32 v7, v12
	v_mov_b32_e32 v153, v186
	v_add_f32_e32 v11, v6, v152
	v_mov_b32_e32 v154, v171
	v_mov_b32_e32 v180, v75
	v_add_f32_e32 v16, v155, v181
	v_pk_add_f32 v[12:13], v[12:13], v[186:187]
	v_mov_b32_e32 v24, v183
	v_mov_b32_e32 v25, v32
	v_pk_add_f32 v[26:27], v[164:165], v[32:33]
	v_mov_b32_e32 v28, v9
	v_mov_b32_e32 v29, v164
	v_pk_add_f32 v[6:7], v[6:7], v[152:153] neg_lo:[0,1] neg_hi:[0,1]
	v_pk_add_f32 v[20:21], v[154:155], v[180:181] neg_lo:[0,1] neg_hi:[0,1]
	;; [unrolled: 1-line block ×3, first 2 shown]
	v_mov_b32_e32 v28, v26
	v_mov_b32_e32 v29, v11
	;; [unrolled: 1-line block ×4, first 2 shown]
	v_pk_add_f32 v[28:29], v[28:29], v[30:31] neg_lo:[0,1] neg_hi:[0,1]
	v_mov_b32_e32 v30, v24
	v_mov_b32_e32 v31, v7
	;; [unrolled: 1-line block ×4, first 2 shown]
	v_pk_add_f32 v[30:31], v[30:31], v[32:33] neg_lo:[0,1] neg_hi:[0,1]
	v_mov_b32_e32 v32, v6
	v_pk_add_f32 v[34:35], v[24:25], v[20:21]
	v_mov_b32_e32 v25, v21
	v_mov_b32_e32 v17, v27
	;; [unrolled: 1-line block ×3, first 2 shown]
	v_pk_add_f32 v[24:25], v[32:33], v[24:25] neg_lo:[0,1] neg_hi:[0,1]
	v_pk_add_f32 v[32:33], v[12:13], v[26:27] neg_lo:[0,1] neg_hi:[0,1]
	v_mov_b32_e32 v27, v13
	v_pk_add_f32 v[12:13], v[16:17], v[10:11]
	v_pk_add_f32 v[12:13], v[26:27], v[12:13]
	;; [unrolled: 1-line block ×3, first 2 shown]
	v_pk_mul_f32 v[28:29], v[28:29], s[10:11]
	v_pk_mul_f32 v[30:31], v[30:31], s[20:21]
	v_pk_add_f32 v[34:35], v[34:35], v[6:7]
	v_pk_fma_f32 v[12:13], v[12:13], s[18:19], v[26:27] op_sel_hi:[1,0,1] neg_lo:[1,0,0] neg_hi:[1,0,0]
	v_pk_fma_f32 v[36:37], v[32:33], s[16:17], v[28:29]
	v_pk_fma_f32 v[40:41], v[24:25], s[14:15], v[30:31]
	v_pk_add_f32 v[36:37], v[36:37], v[12:13]
	v_pk_fma_f32 v[40:41], v[34:35], s[12:13], v[40:41] op_sel_hi:[1,0,1]
	v_mov_b32_e32 v45, v49
	v_pk_add_f32 v[42:43], v[36:37], v[40:41] neg_lo:[0,1] neg_hi:[0,1]
	v_pk_add_f32 v[36:37], v[36:37], v[40:41]
	ds_write_b64 v0, v[44:45] offset:336
	v_mov_b32_e32 v40, v36
	v_mov_b32_e32 v41, v43
	v_accvgpr_read_b32 v0, a204
	v_pk_add_f32 v[10:11], v[16:17], v[10:11] neg_lo:[0,1] neg_hi:[0,1]
	v_pk_add_f32 v[6:7], v[20:21], v[6:7] neg_lo:[0,1] neg_hi:[0,1]
	v_pk_mul_f32 v[16:17], v[32:33], s[16:17]
	v_pk_mul_f32 v[20:21], v[24:25], s[14:15]
	ds_write2_b64 v0, v[26:27], v[40:41] offset1:7
	v_mov_b32_e32 v24, v16
	v_mov_b32_e32 v25, v29
	;; [unrolled: 1-line block ×6, first 2 shown]
	v_pk_fma_f32 v[24:25], v[10:11], s[6:7], v[24:25] op_sel_hi:[1,0,1] neg_lo:[1,0,1] neg_hi:[1,0,1]
	v_pk_fma_f32 v[26:27], v[6:7], s[8:9], v[26:27] op_sel_hi:[1,0,1] neg_lo:[1,0,1] neg_hi:[1,0,1]
	;; [unrolled: 1-line block ×4, first 2 shown]
	v_pk_add_f32 v[24:25], v[24:25], v[12:13]
	v_pk_fma_f32 v[26:27], v[34:35], s[12:13], v[26:27] op_sel_hi:[1,0,1]
	v_pk_add_f32 v[10:11], v[10:11], v[12:13]
	v_pk_fma_f32 v[6:7], v[34:35], s[12:13], v[6:7] op_sel_hi:[1,0,1]
	v_pk_add_f32 v[32:33], v[24:25], v[26:27] neg_lo:[0,1] neg_hi:[0,1]
	v_pk_add_f32 v[24:25], v[24:25], v[26:27]
	v_pk_add_f32 v[12:13], v[10:11], v[6:7]
	v_pk_add_f32 v[6:7], v[10:11], v[6:7] neg_lo:[0,1] neg_hi:[0,1]
	v_mov_b32_e32 v10, v24
	v_mov_b32_e32 v11, v33
	v_mov_b32_e32 v16, v6
	v_mov_b32_e32 v17, v13
	v_mov_b32_e32 v13, v7
	v_mov_b32_e32 v33, v25
	v_mov_b32_e32 v43, v37
	v_mov_b32_e32 v5, v179
	v_mov_b32_e32 v39, v177
	v_mov_b32_e32 v15, v173
	v_mov_b32_e32 v169, v1
	ds_write2_b64 v0, v[10:11], v[16:17] offset0:14 offset1:21
	ds_write2_b64 v0, v[12:13], v[32:33] offset0:28 offset1:35
	ds_write_b64 v0, v[42:43] offset:336
	v_mov_b32_e32 v9, v14
	v_mov_b32_e32 v23, v168
	v_add_f32_e32 v7, v8, v22
	v_mov_b32_e32 v2, v179
	v_mov_b32_e32 v18, v177
	v_add_f32_e32 v0, v3, v19
	v_pk_add_f32 v[10:11], v[14:15], v[168:169]
	v_mov_b32_e32 v12, v1
	v_mov_b32_e32 v13, v38
	v_pk_add_f32 v[14:15], v[4:5], v[38:39]
	v_mov_b32_e32 v16, v173
	v_mov_b32_e32 v17, v4
	v_pk_add_f32 v[8:9], v[8:9], v[22:23] neg_lo:[0,1] neg_hi:[0,1]
	v_pk_add_f32 v[2:3], v[2:3], v[18:19] neg_lo:[0,1] neg_hi:[0,1]
	;; [unrolled: 1-line block ×3, first 2 shown]
	v_mov_b32_e32 v12, v14
	v_mov_b32_e32 v13, v7
	;; [unrolled: 1-line block ×4, first 2 shown]
	v_pk_add_f32 v[12:13], v[12:13], v[16:17] neg_lo:[0,1] neg_hi:[0,1]
	v_mov_b32_e32 v16, v4
	v_mov_b32_e32 v17, v9
	v_mov_b32_e32 v18, v2
	v_mov_b32_e32 v19, v5
	v_pk_add_f32 v[16:17], v[16:17], v[18:19] neg_lo:[0,1] neg_hi:[0,1]
	v_mov_b32_e32 v18, v8
	v_pk_add_f32 v[20:21], v[4:5], v[2:3]
	v_mov_b32_e32 v5, v3
	v_mov_b32_e32 v1, v15
	;; [unrolled: 1-line block ×3, first 2 shown]
	v_pk_add_f32 v[4:5], v[18:19], v[4:5] neg_lo:[0,1] neg_hi:[0,1]
	v_pk_add_f32 v[18:19], v[10:11], v[14:15] neg_lo:[0,1] neg_hi:[0,1]
	v_mov_b32_e32 v15, v11
	v_pk_add_f32 v[10:11], v[0:1], v[6:7]
	v_pk_add_f32 v[10:11], v[14:15], v[10:11]
	;; [unrolled: 1-line block ×3, first 2 shown]
	v_pk_mul_f32 v[12:13], v[12:13], s[10:11]
	v_pk_mul_f32 v[16:17], v[16:17], s[20:21]
	v_pk_add_f32 v[20:21], v[20:21], v[8:9]
	v_pk_fma_f32 v[10:11], v[10:11], s[18:19], v[14:15] op_sel_hi:[1,0,1] neg_lo:[1,0,0] neg_hi:[1,0,0]
	v_pk_fma_f32 v[22:23], v[18:19], s[16:17], v[12:13]
	v_pk_fma_f32 v[24:25], v[4:5], s[14:15], v[16:17]
	v_pk_add_f32 v[22:23], v[22:23], v[10:11]
	v_pk_fma_f32 v[24:25], v[20:21], s[12:13], v[24:25] op_sel_hi:[1,0,1]
	v_pk_add_f32 v[26:27], v[22:23], v[24:25] neg_lo:[0,1] neg_hi:[0,1]
	v_pk_add_f32 v[22:23], v[22:23], v[24:25]
	v_mov_b32_e32 v24, v22
	v_mov_b32_e32 v25, v27
	v_accvgpr_read_b32 v22, a208
	v_pk_add_f32 v[0:1], v[0:1], v[6:7] neg_lo:[0,1] neg_hi:[0,1]
	v_pk_mul_f32 v[6:7], v[18:19], s[16:17]
	v_pk_mul_f32 v[4:5], v[4:5], s[14:15]
	ds_write2_b64 v22, v[14:15], v[24:25] offset1:7
	v_pk_add_f32 v[2:3], v[2:3], v[8:9] neg_lo:[0,1] neg_hi:[0,1]
	v_mov_b32_e32 v8, v6
	v_mov_b32_e32 v9, v13
	;; [unrolled: 1-line block ×6, first 2 shown]
	v_pk_fma_f32 v[8:9], v[0:1], s[6:7], v[8:9] op_sel_hi:[1,0,1] neg_lo:[1,0,1] neg_hi:[1,0,1]
	v_pk_fma_f32 v[14:15], v[2:3], s[8:9], v[14:15] op_sel_hi:[1,0,1] neg_lo:[1,0,1] neg_hi:[1,0,1]
	;; [unrolled: 1-line block ×4, first 2 shown]
	v_pk_add_f32 v[8:9], v[8:9], v[10:11]
	v_pk_fma_f32 v[14:15], v[20:21], s[12:13], v[14:15] op_sel_hi:[1,0,1]
	v_pk_add_f32 v[0:1], v[0:1], v[10:11]
	v_pk_fma_f32 v[2:3], v[20:21], s[12:13], v[2:3] op_sel_hi:[1,0,1]
	v_pk_add_f32 v[18:19], v[8:9], v[14:15] neg_lo:[0,1] neg_hi:[0,1]
	v_pk_add_f32 v[8:9], v[8:9], v[14:15]
	v_pk_add_f32 v[4:5], v[0:1], v[2:3]
	v_pk_add_f32 v[0:1], v[0:1], v[2:3] neg_lo:[0,1] neg_hi:[0,1]
	v_accvgpr_read_b32 v242, a254
	v_mov_b32_e32 v2, v8
	v_mov_b32_e32 v3, v19
	;; [unrolled: 1-line block ×4, first 2 shown]
	v_accvgpr_read_b32 v0, a208
	v_mov_b32_e32 v5, v1
	v_mov_b32_e32 v19, v9
	;; [unrolled: 1-line block ×3, first 2 shown]
	ds_write2_b64 v0, v[2:3], v[6:7] offset0:14 offset1:21
	ds_write2_b64 v0, v[4:5], v[18:19] offset0:28 offset1:35
	ds_write_b64 v0, v[26:27] offset:336
	s_waitcnt lgkmcnt(0)
	; wave barrier
	s_waitcnt lgkmcnt(0)
	ds_read2_b64 v[10:13], v242 offset0:16 offset1:65
	ds_read2_b64 v[174:177], v68 offset0:54 offset1:103
	v_accvgpr_read_b32 v6, a164
	v_accvgpr_read_b32 v9, a167
	v_accvgpr_read_b32 v8, a166
	s_waitcnt lgkmcnt(1)
	v_mul_f32_e32 v21, v9, v11
	v_fmac_f32_e32 v21, v8, v10
	v_mov_b32_e32 v1, v8
	v_mov_b32_e32 v8, v221
	s_waitcnt lgkmcnt(0)
	v_mov_b32_e32 v4, v177
	v_mov_b32_e32 v5, v10
	v_pk_mul_f32 v[4:5], v[8:9], v[4:5]
	v_pk_fma_f32 v[22:23], v[220:221], v[176:177], v[4:5]
	v_accvgpr_read_b32 v23, a248
	ds_read2_b64 v[180:183], v23 offset0:136 offset1:185
	v_accvgpr_read_b32 v7, a165
	v_mov_b32_e32 v0, v220
	v_mov_b32_e32 v2, v176
	;; [unrolled: 1-line block ×3, first 2 shown]
	v_pk_fma_f32 v[24:25], v[0:1], v[2:3], v[4:5] neg_lo:[0,0,1] neg_hi:[0,0,1]
	v_mov_b32_e32 v1, v220
	v_mov_b32_e32 v220, v7
	s_waitcnt lgkmcnt(0)
	v_mov_b32_e32 v4, v183
	v_mov_b32_e32 v5, v176
	v_pk_mul_f32 v[4:5], v[220:221], v[4:5]
	v_accvgpr_read_b32 v221, a241
	v_mov_b32_e32 v3, v177
	ds_read2_b64 v[134:137], v221 offset0:190 offset1:239
	ds_read2_b64 v[176:179], v67 offset0:100 offset1:149
	v_mov_b32_e32 v0, v6
	v_pk_mov_b32 v[74:75], v[6:7], v[6:7] op_sel:[0,1]
	v_accvgpr_read_b32 v6, a222
	ds_read2_b64 v[142:145], v194 offset0:108 offset1:157
	v_accvgpr_read_b32 v7, a223
	v_mov_b32_e32 v2, v182
	s_waitcnt lgkmcnt(1)
	v_mul_f32_e32 v31, v7, v179
	v_pk_fma_f32 v[28:29], v[0:1], v[2:3], v[4:5]
	v_pk_fma_f32 v[26:27], v[0:1], v[2:3], v[4:5] neg_lo:[0,0,1] neg_hi:[0,0,1]
	v_accvgpr_read_b32 v8, a224
	v_accvgpr_read_b32 v9, a225
	v_mov_b32_e32 v1, v6
	v_fmac_f32_e32 v31, v6, v178
	v_mov_b32_e32 v6, v222
	v_mov_b32_e32 v4, v134
	;; [unrolled: 1-line block ×6, first 2 shown]
	v_pk_mul_f32 v[4:5], v[6:7], v[4:5]
	v_pk_mov_b32 v[84:85], v[8:9], v[8:9] op_sel:[0,1]
	v_pk_fma_f32 v[32:33], v[0:1], v[2:3], v[4:5]
	v_pk_fma_f32 v[34:35], v[0:1], v[2:3], v[4:5] neg_lo:[0,0,1] neg_hi:[0,0,1]
	v_mov_b32_e32 v1, v222
	v_mov_b32_e32 v222, v85
	s_waitcnt lgkmcnt(0)
	v_mov_b32_e32 v2, v143
	v_mov_b32_e32 v3, v134
	v_pk_mul_f32 v[2:3], v[222:223], v[2:3]
	v_mov_b32_e32 v0, v84
	v_mov_b32_e32 v4, v142
	;; [unrolled: 1-line block ×3, first 2 shown]
	v_pk_fma_f32 v[38:39], v[0:1], v[4:5], v[2:3]
	v_pk_fma_f32 v[36:37], v[0:1], v[4:5], v[2:3] neg_lo:[0,0,1] neg_hi:[0,0,1]
	ds_read2_b64 v[0:3], v23 offset0:38 offset1:87
	ds_read2_b64 v[8:11], v86 offset0:84 offset1:133
	v_mov_b32_e32 v46, v105
	v_mov_b32_e32 v47, v125
	;; [unrolled: 1-line block ×3, first 2 shown]
	s_waitcnt lgkmcnt(1)
	v_mov_b32_e32 v6, v3
	s_waitcnt lgkmcnt(0)
	v_mov_b32_e32 v7, v10
	v_mov_b32_e32 v43, v124
	;; [unrolled: 1-line block ×4, first 2 shown]
	v_pk_mul_f32 v[6:7], v[46:47], v[6:7]
	v_pk_fma_f32 v[48:49], v[42:43], v[4:5], v[6:7]
	v_pk_fma_f32 v[14:15], v[42:43], v[4:5], v[6:7] neg_lo:[0,0,1] neg_hi:[0,0,1]
	ds_read2_b64 v[184:187], v221 offset0:92 offset1:141
	ds_read2_b64 v[4:7], v195 offset0:130 offset1:179
	;; [unrolled: 1-line block ×3, first 2 shown]
	v_mov_b32_e32 v56, v126
	v_mov_b32_e32 v57, v81
	s_waitcnt lgkmcnt(2)
	v_mov_b32_e32 v18, v184
	s_waitcnt lgkmcnt(1)
	v_mov_b32_e32 v19, v6
	v_mov_b32_e32 v44, v127
	;; [unrolled: 1-line block ×5, first 2 shown]
	v_pk_mul_f32 v[18:19], v[56:57], v[18:19]
	v_pk_fma_f32 v[50:51], v[44:45], v[16:17], v[18:19]
	v_pk_fma_f32 v[52:53], v[44:45], v[16:17], v[18:19] neg_lo:[0,0,1] neg_hi:[0,0,1]
	v_mov_b32_e32 v41, v126
	s_waitcnt lgkmcnt(0)
	v_mov_b32_e32 v18, v197
	v_mov_b32_e32 v19, v184
	;; [unrolled: 1-line block ×6, first 2 shown]
	v_pk_mul_f32 v[18:19], v[126:127], v[18:19]
	v_pk_fma_f32 v[54:55], v[40:41], v[16:17], v[18:19]
	v_mul_f32_e32 v2, v105, v2
	v_mul_f32_e32 v14, v83, v196
	v_pk_fma_f32 v[60:61], v[40:41], v[16:17], v[18:19] neg_lo:[0,0,1] neg_hi:[0,0,1]
	v_fma_f32 v2, v104, v3, -v2
	v_mov_b32_e32 v3, v48
	v_fma_f32 v16, v82, v197, -v14
	v_mov_b32_e32 v17, v54
	v_accvgpr_read_b32 v185, a0
	v_add_f32_e32 v73, v2, v16
	v_pk_add_f32 v[66:67], v[2:3], v[16:17] neg_lo:[0,1] neg_hi:[0,1]
	ds_read2_b64 v[16:19], v185 offset0:174 offset1:223
	v_mov_b32_e32 v64, v125
	v_mov_b32_e32 v65, v107
	;; [unrolled: 1-line block ×4, first 2 shown]
	s_waitcnt lgkmcnt(0)
	v_mov_b32_e32 v63, v16
	v_mov_b32_e32 v59, v106
	;; [unrolled: 1-line block ×4, first 2 shown]
	v_pk_mul_f32 v[62:63], v[64:65], v[62:63]
	v_pk_fma_f32 v[2:3], v[58:59], v[2:3], v[62:63] neg_lo:[0,0,1] neg_hi:[0,0,1]
	v_pk_fma_f32 v[10:11], v[124:125], v[10:11], v[62:63]
	v_mov_b32_e32 v11, v3
	v_mov_b32_e32 v2, v3
	v_mul_f32_e32 v3, v107, v17
	v_mul_f32_e32 v17, v81, v7
	v_fmac_f32_e32 v3, v106, v16
	v_mov_b32_e32 v51, v53
	v_mov_b32_e32 v16, v53
	v_fmac_f32_e32 v17, v80, v6
	v_mov_b32_e32 v49, v15
	v_mov_b32_e32 v55, v61
	v_add_f32_e32 v76, v3, v17
	v_pk_add_f32 v[78:79], v[2:3], v[16:17] neg_lo:[0,1] neg_hi:[0,1]
	v_pk_add_f32 v[2:3], v[48:49], v[54:55]
	v_mov_b32_e32 v6, v61
	v_mov_b32_e32 v7, v50
	v_pk_add_f32 v[16:17], v[10:11], v[50:51]
	v_mov_b32_e32 v14, v15
	v_mov_b32_e32 v15, v10
	v_pk_add_f32 v[6:7], v[6:7], v[14:15] neg_lo:[0,1] neg_hi:[0,1]
	v_mov_b32_e32 v10, v16
	v_mov_b32_e32 v11, v73
	;; [unrolled: 1-line block ×4, first 2 shown]
	v_pk_add_f32 v[10:11], v[10:11], v[14:15] neg_lo:[0,1] neg_hi:[0,1]
	v_mov_b32_e32 v14, v6
	v_mov_b32_e32 v15, v67
	;; [unrolled: 1-line block ×6, first 2 shown]
	v_pk_add_f32 v[14:15], v[14:15], v[48:49] neg_lo:[0,1] neg_hi:[0,1]
	v_mov_b32_e32 v48, v66
	v_pk_add_f32 v[50:51], v[6:7], v[78:79]
	v_mov_b32_e32 v7, v79
	v_pk_add_f32 v[60:61], v[2:3], v[16:17] neg_lo:[0,1] neg_hi:[0,1]
	v_mov_b32_e32 v17, v3
	v_pk_add_f32 v[2:3], v[76:77], v[72:73]
	v_pk_add_f32 v[54:55], v[48:49], v[6:7] neg_lo:[0,1] neg_hi:[0,1]
	v_pk_add_f32 v[2:3], v[16:17], v[2:3]
	v_pk_add_f32 v[48:49], v[50:51], v[66:67]
	v_pk_mul_f32 v[50:51], v[14:15], s[20:21]
	ds_read2_b64 v[14:17], v193 offset1:49
	v_pk_mul_f32 v[52:53], v[10:11], s[10:11]
	v_pk_fma_f32 v[6:7], v[54:55], s[14:15], v[50:51]
	v_pk_fma_f32 v[6:7], v[48:49], s[12:13], v[6:7] op_sel_hi:[1,0,1]
	v_accvgpr_read_b32 v20, a239
	s_waitcnt lgkmcnt(0)
	v_pk_add_f32 v[62:63], v[2:3], v[14:15]
	v_pk_fma_f32 v[14:15], v[2:3], s[18:19], v[62:63] op_sel_hi:[1,0,1] neg_lo:[1,0,0] neg_hi:[1,0,0]
	v_pk_fma_f32 v[2:3], v[60:61], s[16:17], v[52:53]
	v_pk_add_f32 v[2:3], v[2:3], v[14:15]
	v_pk_add_f32 v[10:11], v[2:3], v[6:7]
	v_pk_add_f32 v[6:7], v[2:3], v[6:7] neg_lo:[0,1] neg_hi:[0,1]
	ds_read2_b64 v[150:153], v195 offset0:32 offset1:81
	ds_read_b64 v[2:3], v193 offset:18816
	ds_read2_b64 v[188:191], v193 offset0:98 offset1:147
	ds_read2_b64 v[166:169], v20 offset0:106 offset1:155
	;; [unrolled: 1-line block ×3, first 2 shown]
	v_accvgpr_read_b32 v184, a249
	v_mov_b32_e32 v68, v10
	v_mov_b32_e32 v69, v7
	v_pk_mul_f32 v[60:61], v[60:61], s[16:17]
	v_pk_mul_f32 v[54:55], v[54:55], s[14:15]
	ds_read2_b64 v[162:165], v184 offset0:70 offset1:119
	ds_read2_b64 v[146:149], v193 offset0:196 offset1:245
	;; [unrolled: 1-line block ×7, first 2 shown]
	s_waitcnt lgkmcnt(0)
	; wave barrier
	s_waitcnt lgkmcnt(0)
	ds_write2_b64 v193, v[62:63], v[68:69] offset1:49
	v_pk_add_f32 v[62:63], v[76:77], v[72:73] neg_lo:[0,1] neg_hi:[0,1]
	v_pk_add_f32 v[66:67], v[78:79], v[66:67] neg_lo:[0,1] neg_hi:[0,1]
	v_mov_b32_e32 v68, v60
	v_mov_b32_e32 v69, v53
	v_mov_b32_e32 v70, v54
	v_mov_b32_e32 v71, v51
	v_mov_b32_e32 v53, v61
	v_mov_b32_e32 v51, v55
	v_pk_fma_f32 v[68:69], v[62:63], s[6:7], v[68:69] op_sel_hi:[1,0,1] neg_lo:[1,0,1] neg_hi:[1,0,1]
	v_pk_fma_f32 v[70:71], v[66:67], s[8:9], v[70:71] op_sel_hi:[1,0,1] neg_lo:[1,0,1] neg_hi:[1,0,1]
	;; [unrolled: 1-line block ×4, first 2 shown]
	v_pk_add_f32 v[68:69], v[68:69], v[14:15]
	v_pk_fma_f32 v[70:71], v[48:49], s[12:13], v[70:71] op_sel_hi:[1,0,1]
	v_pk_add_f32 v[14:15], v[52:53], v[14:15]
	v_pk_fma_f32 v[48:49], v[48:49], s[12:13], v[50:51] op_sel_hi:[1,0,1]
	v_pk_add_f32 v[72:73], v[68:69], v[70:71]
	v_pk_add_f32 v[68:69], v[68:69], v[70:71] neg_lo:[0,1] neg_hi:[0,1]
	v_pk_add_f32 v[50:51], v[14:15], v[48:49] neg_lo:[0,1] neg_hi:[0,1]
	v_pk_add_f32 v[14:15], v[14:15], v[48:49]
	v_mov_b32_e32 v49, v69
	v_mov_b32_e32 v53, v15
	;; [unrolled: 1-line block ×5, first 2 shown]
	ds_write2_b64 v193, v[14:15], v[68:69] offset0:196 offset1:245
	v_mul_f32_e32 v15, v107, v19
	v_mov_b32_e32 v51, v18
	v_mov_b32_e32 v50, v175
	;; [unrolled: 1-line block ×3, first 2 shown]
	v_fmac_f32_e32 v15, v106, v18
	v_pk_mul_f32 v[50:51], v[64:65], v[50:51]
	v_mov_b32_e32 v18, v174
	v_mov_b32_e32 v54, v181
	;; [unrolled: 1-line block ×3, first 2 shown]
	ds_write2_b64 v193, v[48:49], v[52:53] offset0:98 offset1:147
	v_pk_fma_f32 v[18:19], v[58:59], v[18:19], v[50:51] neg_lo:[0,0,1] neg_hi:[0,0,1]
	v_mov_b32_e32 v52, v180
	v_mov_b32_e32 v53, v175
	v_pk_mul_f32 v[46:47], v[46:47], v[54:55]
	v_mov_b32_e32 v59, v176
	v_mov_b32_e32 v58, v186
	v_pk_fma_f32 v[54:55], v[42:43], v[52:53], v[46:47]
	v_pk_fma_f32 v[42:43], v[42:43], v[52:53], v[46:47] neg_lo:[0,0,1] neg_hi:[0,0,1]
	v_mov_b32_e32 v53, v177
	v_pk_mul_f32 v[56:57], v[56:57], v[58:59]
	v_mov_b32_e32 v52, v187
	v_mul_f32_e32 v7, v105, v180
	v_pk_fma_f32 v[58:59], v[44:45], v[52:53], v[56:57]
	v_pk_fma_f32 v[44:45], v[44:45], v[52:53], v[56:57] neg_lo:[0,0,1] neg_hi:[0,0,1]
	v_mov_b32_e32 v52, v199
	v_mov_b32_e32 v53, v186
	v_fma_f32 v10, v104, v181, -v7
	v_mul_f32_e32 v7, v75, v182
	v_pk_mul_f32 v[52:53], v[126:127], v[52:53]
	v_mov_b32_e32 v60, v198
	v_mov_b32_e32 v61, v187
	v_fma_f32 v48, v74, v183, -v7
	v_pk_fma_f32 v[50:51], v[124:125], v[174:175], v[50:51]
	v_mul_f32_e32 v47, v81, v177
	v_mul_f32_e32 v7, v83, v198
	v_pk_fma_f32 v[62:63], v[40:41], v[60:61], v[52:53]
	v_pk_fma_f32 v[40:41], v[40:41], v[60:61], v[52:53] neg_lo:[0,0,1] neg_hi:[0,0,1]
	v_fmac_f32_e32 v47, v80, v176
	v_fma_f32 v56, v82, v199, -v7
	v_mov_b32_e32 v51, v19
	v_mov_b32_e32 v14, v19
	;; [unrolled: 1-line block ×9, first 2 shown]
	v_add_f32_e32 v53, v10, v56
	v_add_f32_e32 v18, v15, v47
	v_pk_add_f32 v[14:15], v[14:15], v[46:47] neg_lo:[0,1] neg_hi:[0,1]
	v_pk_add_f32 v[44:45], v[54:55], v[62:63]
	v_mov_b32_e32 v40, v41
	v_mov_b32_e32 v41, v58
	v_pk_add_f32 v[46:47], v[50:51], v[58:59]
	v_mov_b32_e32 v42, v43
	v_mov_b32_e32 v43, v50
	v_pk_add_f32 v[10:11], v[10:11], v[56:57] neg_lo:[0,1] neg_hi:[0,1]
	v_pk_add_f32 v[40:41], v[40:41], v[42:43] neg_lo:[0,1] neg_hi:[0,1]
	v_mov_b32_e32 v42, v46
	v_mov_b32_e32 v43, v53
	;; [unrolled: 1-line block ×4, first 2 shown]
	v_pk_add_f32 v[42:43], v[42:43], v[50:51] neg_lo:[0,1] neg_hi:[0,1]
	v_mov_b32_e32 v50, v40
	v_mov_b32_e32 v51, v11
	;; [unrolled: 1-line block ×4, first 2 shown]
	v_pk_add_f32 v[50:51], v[50:51], v[54:55] neg_lo:[0,1] neg_hi:[0,1]
	v_mov_b32_e32 v54, v10
	v_pk_add_f32 v[56:57], v[40:41], v[14:15]
	v_mov_b32_e32 v41, v15
	v_mov_b32_e32 v19, v47
	v_mov_b32_e32 v52, v44
	v_pk_add_f32 v[40:41], v[54:55], v[40:41] neg_lo:[0,1] neg_hi:[0,1]
	v_pk_add_f32 v[54:55], v[44:45], v[46:47] neg_lo:[0,1] neg_hi:[0,1]
	v_mov_b32_e32 v47, v45
	v_pk_add_f32 v[44:45], v[18:19], v[52:53]
	v_pk_add_f32 v[44:45], v[46:47], v[44:45]
	;; [unrolled: 1-line block ×3, first 2 shown]
	v_accvgpr_read_b32 v187, a248
	ds_write2_b64 v187, v[6:7], v[16:17] offset0:38 offset1:87
	v_pk_fma_f32 v[6:7], v[44:45], s[18:19], v[16:17] op_sel_hi:[1,0,1] neg_lo:[1,0,0] neg_hi:[1,0,0]
	v_pk_mul_f32 v[42:43], v[42:43], s[10:11]
	v_pk_mul_f32 v[44:45], v[50:51], s[20:21]
	v_pk_add_f32 v[16:17], v[56:57], v[10:11]
	v_pk_fma_f32 v[46:47], v[54:55], s[16:17], v[42:43]
	v_pk_fma_f32 v[50:51], v[40:41], s[14:15], v[44:45]
	v_pk_add_f32 v[46:47], v[46:47], v[6:7]
	v_pk_fma_f32 v[50:51], v[16:17], s[12:13], v[50:51] op_sel_hi:[1,0,1]
	v_pk_add_f32 v[10:11], v[14:15], v[10:11] neg_lo:[0,1] neg_hi:[0,1]
	v_pk_mul_f32 v[14:15], v[54:55], s[16:17]
	v_pk_mul_f32 v[40:41], v[40:41], s[14:15]
	v_pk_add_f32 v[56:57], v[46:47], v[50:51] neg_lo:[0,1] neg_hi:[0,1]
	v_pk_add_f32 v[46:47], v[46:47], v[50:51]
	v_pk_add_f32 v[18:19], v[18:19], v[52:53] neg_lo:[0,1] neg_hi:[0,1]
	v_mov_b32_e32 v50, v14
	v_mov_b32_e32 v51, v43
	;; [unrolled: 1-line block ×6, first 2 shown]
	v_pk_fma_f32 v[50:51], v[18:19], s[6:7], v[50:51] op_sel_hi:[1,0,1] neg_lo:[1,0,1] neg_hi:[1,0,1]
	v_pk_fma_f32 v[52:53], v[10:11], s[8:9], v[52:53] op_sel_hi:[1,0,1] neg_lo:[1,0,1] neg_hi:[1,0,1]
	;; [unrolled: 1-line block ×4, first 2 shown]
	v_pk_add_f32 v[50:51], v[50:51], v[6:7]
	v_pk_add_f32 v[6:7], v[14:15], v[6:7]
	v_pk_fma_f32 v[10:11], v[16:17], s[12:13], v[10:11] op_sel_hi:[1,0,1]
	v_pk_add_f32 v[14:15], v[6:7], v[10:11]
	v_pk_add_f32 v[6:7], v[6:7], v[10:11] neg_lo:[0,1] neg_hi:[0,1]
	v_mov_b32_e32 v10, v6
	v_mul_f32_e32 v6, v85, v142
	v_mov_b32_e32 v11, v15
	v_mov_b32_e32 v15, v7
	v_fma_f32 v6, v84, v143, -v6
	v_mov_b32_e32 v49, v28
	v_mov_b32_e32 v7, v38
	;; [unrolled: 1-line block ×6, first 2 shown]
	v_pk_fma_f32 v[52:53], v[16:17], s[12:13], v[52:53] op_sel_hi:[1,0,1]
	ds_write2_b64 v20, v[10:11], v[14:15] offset0:106 offset1:155
	v_add_f32_e32 v15, v48, v6
	v_pk_add_f32 v[16:17], v[48:49], v[6:7] neg_lo:[0,1] neg_hi:[0,1]
	v_mov_b32_e32 v20, v25
	v_mov_b32_e32 v30, v35
	v_add_f32_e32 v18, v21, v31
	v_pk_add_f32 v[6:7], v[28:29], v[38:39]
	v_mov_b32_e32 v10, v37
	v_mov_b32_e32 v11, v32
	v_pk_add_f32 v[24:25], v[22:23], v[32:33]
	v_mov_b32_e32 v26, v27
	v_mov_b32_e32 v27, v22
	v_pk_add_f32 v[20:21], v[20:21], v[30:31] neg_lo:[0,1] neg_hi:[0,1]
	v_pk_add_f32 v[10:11], v[10:11], v[26:27] neg_lo:[0,1] neg_hi:[0,1]
	v_mov_b32_e32 v22, v24
	v_mov_b32_e32 v23, v15
	;; [unrolled: 1-line block ×6, first 2 shown]
	v_pk_add_f32 v[22:23], v[22:23], v[26:27] neg_lo:[0,1] neg_hi:[0,1]
	v_mov_b32_e32 v26, v10
	v_mov_b32_e32 v27, v17
	;; [unrolled: 1-line block ×4, first 2 shown]
	v_pk_add_f32 v[32:33], v[6:7], v[24:25] neg_lo:[0,1] neg_hi:[0,1]
	v_mov_b32_e32 v25, v7
	v_pk_add_f32 v[6:7], v[18:19], v[14:15]
	v_pk_add_f32 v[26:27], v[26:27], v[28:29] neg_lo:[0,1] neg_hi:[0,1]
	v_mov_b32_e32 v28, v16
	v_pk_add_f32 v[30:31], v[10:11], v[20:21]
	v_mov_b32_e32 v11, v21
	v_pk_add_f32 v[6:7], v[24:25], v[6:7]
	v_pk_add_f32 v[28:29], v[28:29], v[10:11] neg_lo:[0,1] neg_hi:[0,1]
	v_pk_add_f32 v[24:25], v[30:31], v[16:17]
	v_pk_mul_f32 v[22:23], v[22:23], s[10:11]
	v_pk_mul_f32 v[26:27], v[26:27], s[20:21]
	v_pk_add_f32 v[30:31], v[6:7], v[188:189]
	v_pk_fma_f32 v[34:35], v[6:7], s[18:19], v[30:31] op_sel_hi:[1,0,1] neg_lo:[1,0,0] neg_hi:[1,0,0]
	v_pk_fma_f32 v[6:7], v[32:33], s[16:17], v[22:23]
	v_pk_fma_f32 v[10:11], v[28:29], s[14:15], v[26:27]
	v_pk_add_f32 v[6:7], v[6:7], v[34:35]
	v_pk_fma_f32 v[36:37], v[24:25], s[12:13], v[10:11] op_sel_hi:[1,0,1]
	v_pk_add_f32 v[54:55], v[50:51], v[52:53] neg_lo:[0,1] neg_hi:[0,1]
	v_pk_add_f32 v[50:51], v[50:51], v[52:53]
	v_pk_add_f32 v[10:11], v[6:7], v[36:37]
	v_pk_add_f32 v[6:7], v[6:7], v[36:37] neg_lo:[0,1] neg_hi:[0,1]
	v_mov_b32_e32 v52, v46
	v_mov_b32_e32 v53, v57
	;; [unrolled: 1-line block ×8, first 2 shown]
	v_accvgpr_read_b32 v7, a247
	v_pk_add_f32 v[14:15], v[18:19], v[14:15] neg_lo:[0,1] neg_hi:[0,1]
	v_pk_add_f32 v[16:17], v[20:21], v[16:17] neg_lo:[0,1] neg_hi:[0,1]
	v_pk_mul_f32 v[18:19], v[32:33], s[16:17]
	v_pk_mul_f32 v[20:21], v[28:29], s[14:15]
	ds_write2_b64 v187, v[52:53], v[58:59] offset0:136 offset1:185
	ds_write2_b64 v185, v[54:55], v[56:57] offset0:76 offset1:125
	;; [unrolled: 1-line block ×3, first 2 shown]
	v_mov_b32_e32 v28, v18
	v_mov_b32_e32 v29, v23
	v_mov_b32_e32 v30, v20
	v_mov_b32_e32 v31, v27
	v_mov_b32_e32 v23, v19
	v_mov_b32_e32 v27, v21
	v_pk_fma_f32 v[28:29], v[14:15], s[6:7], v[28:29] op_sel_hi:[1,0,1] neg_lo:[1,0,1] neg_hi:[1,0,1]
	v_pk_fma_f32 v[30:31], v[16:17], s[8:9], v[30:31] op_sel_hi:[1,0,1] neg_lo:[1,0,1] neg_hi:[1,0,1]
	;; [unrolled: 1-line block ×4, first 2 shown]
	v_pk_add_f32 v[28:29], v[28:29], v[34:35]
	v_pk_fma_f32 v[30:31], v[24:25], s[12:13], v[30:31] op_sel_hi:[1,0,1]
	v_pk_add_f32 v[14:15], v[14:15], v[34:35]
	v_pk_fma_f32 v[16:17], v[24:25], s[12:13], v[16:17] op_sel_hi:[1,0,1]
	v_pk_add_f32 v[32:33], v[28:29], v[30:31]
	v_pk_add_f32 v[28:29], v[28:29], v[30:31] neg_lo:[0,1] neg_hi:[0,1]
	v_pk_add_f32 v[18:19], v[14:15], v[16:17] neg_lo:[0,1] neg_hi:[0,1]
	v_pk_add_f32 v[14:15], v[14:15], v[16:17]
	v_accvgpr_read_b32 v34, a212
	v_mov_b32_e32 v16, v32
	v_mov_b32_e32 v17, v29
	;; [unrolled: 1-line block ×4, first 2 shown]
	v_accvgpr_read_b32 v7, a246
	v_mov_b32_e32 v15, v19
	v_mov_b32_e32 v29, v33
	v_accvgpr_read_b32 v35, a213
	ds_write2_b64 v7, v[16:17], v[20:21] offset0:16 offset1:65
	ds_write2_b64 v7, v[14:15], v[28:29] offset0:114 offset1:163
	v_accvgpr_read_b32 v14, a133
	v_mov_b32_e32 v15, v35
	v_mov_b32_e32 v16, v167
	;; [unrolled: 1-line block ×3, first 2 shown]
	v_accvgpr_read_b32 v36, a214
	v_pk_mul_f32 v[14:15], v[14:15], v[16:17]
	v_accvgpr_read_b32 v16, a132
	v_mov_b32_e32 v17, v34
	v_mov_b32_e32 v18, v166
	;; [unrolled: 1-line block ×3, first 2 shown]
	v_accvgpr_read_b32 v37, a215
	v_pk_fma_f32 v[20:21], v[16:17], v[18:19], v[14:15]
	v_pk_fma_f32 v[14:15], v[16:17], v[18:19], v[14:15] neg_lo:[0,0,1] neg_hi:[0,0,1]
	v_mov_b32_e32 v16, v36
	v_accvgpr_read_b32 v17, a129
	v_mov_b32_e32 v18, v136
	v_mov_b32_e32 v19, v162
	v_accvgpr_read_b32 v28, a132
	v_pk_mul_f32 v[16:17], v[16:17], v[18:19]
	v_mov_b32_e32 v18, v37
	v_accvgpr_read_b32 v19, a128
	v_mov_b32_e32 v22, v137
	v_mov_b32_e32 v23, v163
	v_accvgpr_read_b32 v31, a135
	v_pk_fma_f32 v[24:25], v[18:19], v[22:23], v[16:17]
	v_pk_fma_f32 v[16:17], v[18:19], v[22:23], v[16:17] neg_lo:[0,0,1] neg_hi:[0,0,1]
	v_accvgpr_read_b32 v30, a134
	v_mul_f32_e32 v19, v31, v13
	v_mov_b32_e32 v23, v12
	v_mov_b32_e32 v26, v35
	;; [unrolled: 1-line block ×4, first 2 shown]
	v_fmac_f32_e32 v19, v30, v12
	v_pk_mul_f32 v[22:23], v[26:27], v[22:23]
	v_mov_b32_e32 v27, v30
	v_accvgpr_read_b32 v30, a128
	v_accvgpr_read_b32 v29, a133
	v_mov_b32_e32 v26, v34
	v_mov_b32_e32 v12, v170
	v_accvgpr_read_b32 v33, a131
	v_pk_mov_b32 v[38:39], v[28:29], v[28:29] op_sel:[0,1]
	v_pk_fma_f32 v[12:13], v[26:27], v[12:13], v[22:23] neg_lo:[0,0,1] neg_hi:[0,0,1]
	v_mov_b32_e32 v27, v36
	v_accvgpr_read_b32 v32, a130
	v_mov_b32_e32 v36, v33
	v_mov_b32_e32 v28, v145
	;; [unrolled: 1-line block ×3, first 2 shown]
	v_accvgpr_read_b32 v31, a129
	v_pk_fma_f32 v[22:23], v[34:35], v[170:171], v[22:23]
	v_pk_mul_f32 v[28:29], v[36:37], v[28:29]
	v_mov_b32_e32 v26, v32
	v_mul_f32_e32 v7, v33, v144
	v_mov_b32_e32 v34, v144
	v_mov_b32_e32 v35, v137
	v_mul_f32_e32 v31, v31, v163
	v_fma_f32 v32, v32, v145, -v7
	v_pk_fma_f32 v[36:37], v[26:27], v[34:35], v[28:29]
	v_pk_fma_f32 v[26:27], v[26:27], v[34:35], v[28:29] neg_lo:[0,0,1] neg_hi:[0,0,1]
	v_mul_f32_e32 v7, v39, v166
	v_fmac_f32_e32 v31, v30, v162
	v_fma_f32 v28, v38, v167, -v7
	v_mov_b32_e32 v23, v13
	v_mov_b32_e32 v25, v17
	;; [unrolled: 1-line block ×6, first 2 shown]
	v_add_f32_e32 v35, v28, v32
	v_mov_b32_e32 v18, v13
	v_mov_b32_e32 v30, v17
	v_add_f32_e32 v16, v19, v31
	v_pk_add_f32 v[12:13], v[20:21], v[36:37]
	v_mov_b32_e32 v20, v27
	v_mov_b32_e32 v21, v24
	v_pk_add_f32 v[24:25], v[22:23], v[24:25]
	v_mov_b32_e32 v14, v15
	v_mov_b32_e32 v15, v22
	v_pk_add_f32 v[28:29], v[28:29], v[32:33] neg_lo:[0,1] neg_hi:[0,1]
	v_pk_add_f32 v[18:19], v[18:19], v[30:31] neg_lo:[0,1] neg_hi:[0,1]
	;; [unrolled: 1-line block ×3, first 2 shown]
	v_mov_b32_e32 v20, v24
	v_mov_b32_e32 v21, v35
	;; [unrolled: 1-line block ×6, first 2 shown]
	v_pk_add_f32 v[20:21], v[20:21], v[22:23] neg_lo:[0,1] neg_hi:[0,1]
	v_mov_b32_e32 v22, v14
	v_mov_b32_e32 v23, v29
	;; [unrolled: 1-line block ×4, first 2 shown]
	v_pk_add_f32 v[32:33], v[12:13], v[24:25] neg_lo:[0,1] neg_hi:[0,1]
	v_mov_b32_e32 v25, v13
	v_pk_add_f32 v[12:13], v[16:17], v[34:35]
	v_pk_add_f32 v[22:23], v[22:23], v[26:27] neg_lo:[0,1] neg_hi:[0,1]
	v_mov_b32_e32 v26, v28
	v_pk_add_f32 v[30:31], v[14:15], v[18:19]
	v_mov_b32_e32 v15, v19
	v_pk_add_f32 v[12:13], v[24:25], v[12:13]
	v_pk_add_f32 v[26:27], v[26:27], v[14:15] neg_lo:[0,1] neg_hi:[0,1]
	v_pk_add_f32 v[24:25], v[12:13], v[190:191]
	v_pk_mul_f32 v[20:21], v[20:21], s[10:11]
	v_pk_mul_f32 v[22:23], v[22:23], s[20:21]
	v_pk_add_f32 v[30:31], v[30:31], v[28:29]
	v_pk_fma_f32 v[36:37], v[12:13], s[18:19], v[24:25] op_sel_hi:[1,0,1] neg_lo:[1,0,0] neg_hi:[1,0,0]
	v_pk_fma_f32 v[12:13], v[32:33], s[16:17], v[20:21]
	v_pk_fma_f32 v[14:15], v[26:27], s[14:15], v[22:23]
	v_pk_add_f32 v[12:13], v[12:13], v[36:37]
	v_pk_fma_f32 v[38:39], v[30:31], s[12:13], v[14:15] op_sel_hi:[1,0,1]
	v_pk_add_f32 v[14:15], v[12:13], v[38:39]
	v_pk_add_f32 v[12:13], v[12:13], v[38:39] neg_lo:[0,1] neg_hi:[0,1]
	v_mov_b32_e32 v38, v14
	v_mov_b32_e32 v39, v13
	v_accvgpr_read_b32 v7, a245
	ds_write2_b64 v7, v[24:25], v[38:39] offset0:5 offset1:54
	v_pk_mul_f32 v[24:25], v[32:33], s[16:17]
	v_pk_mul_f32 v[26:27], v[26:27], s[14:15]
	v_pk_add_f32 v[16:17], v[16:17], v[34:35] neg_lo:[0,1] neg_hi:[0,1]
	v_pk_add_f32 v[18:19], v[18:19], v[28:29] neg_lo:[0,1] neg_hi:[0,1]
	v_mov_b32_e32 v28, v24
	v_mov_b32_e32 v29, v21
	;; [unrolled: 1-line block ×6, first 2 shown]
	v_pk_fma_f32 v[28:29], v[16:17], s[6:7], v[28:29] op_sel_hi:[1,0,1] neg_lo:[1,0,1] neg_hi:[1,0,1]
	v_pk_fma_f32 v[32:33], v[18:19], s[8:9], v[32:33] op_sel_hi:[1,0,1] neg_lo:[1,0,1] neg_hi:[1,0,1]
	v_pk_fma_f32 v[16:17], v[16:17], s[6:7], v[20:21] op_sel_hi:[1,0,1] neg_lo:[0,0,1] neg_hi:[0,0,1]
	v_pk_fma_f32 v[18:19], v[18:19], s[8:9], v[22:23] op_sel_hi:[1,0,1] neg_lo:[0,0,1] neg_hi:[0,0,1]
	v_pk_add_f32 v[28:29], v[28:29], v[36:37]
	v_pk_fma_f32 v[32:33], v[30:31], s[12:13], v[32:33] op_sel_hi:[1,0,1]
	v_pk_add_f32 v[16:17], v[16:17], v[36:37]
	v_pk_fma_f32 v[18:19], v[30:31], s[12:13], v[18:19] op_sel_hi:[1,0,1]
	v_pk_add_f32 v[34:35], v[28:29], v[32:33]
	v_pk_add_f32 v[28:29], v[28:29], v[32:33] neg_lo:[0,1] neg_hi:[0,1]
	v_pk_add_f32 v[20:21], v[16:17], v[18:19] neg_lo:[0,1] neg_hi:[0,1]
	v_pk_add_f32 v[16:17], v[16:17], v[18:19]
	v_mov_b32_e32 v19, v29
	v_mov_b32_e32 v23, v17
	;; [unrolled: 1-line block ×4, first 2 shown]
	ds_write2_b64 v7, v[16:17], v[28:29] offset0:201 offset1:250
	v_accvgpr_read_b32 v36, a192
	v_accvgpr_read_b32 v28, a124
	v_mov_b32_e32 v18, v34
	v_mov_b32_e32 v22, v20
	v_accvgpr_read_b32 v37, a193
	v_accvgpr_read_b32 v31, a127
	ds_write2_b64 v7, v[18:19], v[22:23] offset0:103 offset1:152
	v_mov_b32_e32 v16, v37
	v_accvgpr_read_b32 v29, a125
	v_accvgpr_read_b32 v30, a126
	v_mov_b32_e32 v17, v31
	v_mov_b32_e32 v18, v173
	;; [unrolled: 1-line block ×3, first 2 shown]
	v_mul_f32_e32 v27, v31, v159
	v_accvgpr_read_b32 v40, a196
	v_accvgpr_read_b32 v38, a194
	v_pk_mul_f32 v[16:17], v[16:17], v[18:19]
	v_mov_b32_e32 v18, v36
	v_mov_b32_e32 v19, v30
	;; [unrolled: 1-line block ×6, first 2 shown]
	v_fmac_f32_e32 v27, v30, v158
	v_mov_b32_e32 v30, v29
	v_mov_b32_e32 v31, v37
	v_accvgpr_read_b32 v41, a197
	v_accvgpr_read_b32 v39, a195
	v_pk_fma_f32 v[18:19], v[18:19], v[20:21], v[16:17] neg_lo:[0,0,1] neg_hi:[0,0,1]
	v_mov_b32_e32 v21, v173
	v_mov_b32_e32 v20, v168
	v_mul_f32_e32 v7, v29, v168
	v_pk_mul_f32 v[22:23], v[30:31], v[22:23]
	v_mov_b32_e32 v29, v36
	v_mov_b32_e32 v33, v164
	;; [unrolled: 1-line block ×5, first 2 shown]
	v_fma_f32 v24, v28, v169, -v7
	v_pk_fma_f32 v[30:31], v[28:29], v[20:21], v[22:23]
	v_pk_fma_f32 v[20:21], v[28:29], v[20:21], v[22:23] neg_lo:[0,0,1] neg_hi:[0,0,1]
	v_accvgpr_read_b32 v43, a199
	v_mov_b32_e32 v29, v165
	v_pk_mul_f32 v[32:33], v[34:35], v[32:33]
	v_mov_b32_e32 v34, v39
	v_mov_b32_e32 v35, v40
	;; [unrolled: 1-line block ×3, first 2 shown]
	v_pk_fma_f32 v[16:17], v[36:37], v[172:173], v[16:17]
	v_accvgpr_read_b32 v42, a198
	v_pk_fma_f32 v[36:37], v[34:35], v[28:29], v[32:33]
	v_pk_fma_f32 v[28:29], v[34:35], v[28:29], v[32:33] neg_lo:[0,0,1] neg_hi:[0,0,1]
	v_mov_b32_e32 v33, v38
	v_mov_b32_e32 v38, v43
	;; [unrolled: 1-line block ×4, first 2 shown]
	v_mul_f32_e32 v23, v41, v165
	v_pk_mul_f32 v[34:35], v[38:39], v[34:35]
	v_mov_b32_e32 v32, v42
	v_mov_b32_e32 v38, v154
	;; [unrolled: 1-line block ×3, first 2 shown]
	v_fmac_f32_e32 v23, v40, v164
	v_pk_fma_f32 v[40:41], v[32:33], v[38:39], v[34:35]
	v_pk_fma_f32 v[32:33], v[32:33], v[38:39], v[34:35] neg_lo:[0,0,1] neg_hi:[0,0,1]
	v_mul_f32_e32 v7, v43, v154
	v_fma_f32 v34, v42, v155, -v7
	v_mov_b32_e32 v17, v19
	v_mov_b32_e32 v26, v19
	;; [unrolled: 1-line block ×8, first 2 shown]
	v_add_f32_e32 v39, v24, v34
	v_add_f32_e32 v20, v27, v23
	v_pk_add_f32 v[22:23], v[26:27], v[22:23] neg_lo:[0,1] neg_hi:[0,1]
	v_pk_add_f32 v[18:19], v[30:31], v[40:41]
	v_mov_b32_e32 v26, v33
	v_mov_b32_e32 v27, v36
	v_pk_add_f32 v[28:29], v[16:17], v[36:37]
	v_mov_b32_e32 v30, v21
	v_mov_b32_e32 v31, v16
	v_pk_add_f32 v[24:25], v[24:25], v[34:35] neg_lo:[0,1] neg_hi:[0,1]
	v_pk_add_f32 v[16:17], v[26:27], v[30:31] neg_lo:[0,1] neg_hi:[0,1]
	v_mov_b32_e32 v26, v28
	v_mov_b32_e32 v27, v39
	;; [unrolled: 1-line block ×4, first 2 shown]
	v_pk_add_f32 v[26:27], v[26:27], v[30:31] neg_lo:[0,1] neg_hi:[0,1]
	v_mov_b32_e32 v30, v16
	v_mov_b32_e32 v31, v25
	;; [unrolled: 1-line block ×4, first 2 shown]
	v_pk_add_f32 v[30:31], v[30:31], v[32:33] neg_lo:[0,1] neg_hi:[0,1]
	v_mov_b32_e32 v32, v24
	v_pk_add_f32 v[34:35], v[16:17], v[22:23]
	v_mov_b32_e32 v17, v23
	v_mov_b32_e32 v21, v29
	;; [unrolled: 1-line block ×3, first 2 shown]
	v_pk_add_f32 v[32:33], v[32:33], v[16:17] neg_lo:[0,1] neg_hi:[0,1]
	v_pk_add_f32 v[36:37], v[18:19], v[28:29] neg_lo:[0,1] neg_hi:[0,1]
	v_mov_b32_e32 v29, v19
	v_pk_add_f32 v[16:17], v[20:21], v[38:39]
	v_pk_add_f32 v[16:17], v[28:29], v[16:17]
	;; [unrolled: 1-line block ×3, first 2 shown]
	v_pk_mul_f32 v[26:27], v[26:27], s[10:11]
	v_pk_mul_f32 v[30:31], v[30:31], s[20:21]
	v_pk_add_f32 v[34:35], v[16:17], v[146:147]
	v_pk_fma_f32 v[40:41], v[16:17], s[18:19], v[34:35] op_sel_hi:[1,0,1] neg_lo:[1,0,0] neg_hi:[1,0,0]
	v_pk_fma_f32 v[16:17], v[36:37], s[16:17], v[26:27]
	v_pk_fma_f32 v[18:19], v[32:33], s[14:15], v[30:31]
	v_pk_add_f32 v[16:17], v[16:17], v[40:41]
	v_pk_fma_f32 v[42:43], v[28:29], s[12:13], v[18:19] op_sel_hi:[1,0,1]
	v_pk_add_f32 v[18:19], v[16:17], v[42:43]
	v_pk_add_f32 v[16:17], v[16:17], v[42:43] neg_lo:[0,1] neg_hi:[0,1]
	v_mov_b32_e32 v42, v18
	v_mov_b32_e32 v43, v17
	v_accvgpr_read_b32 v7, a243
	v_pk_add_f32 v[22:23], v[22:23], v[24:25] neg_lo:[0,1] neg_hi:[0,1]
	v_pk_mul_f32 v[24:25], v[36:37], s[16:17]
	v_pk_mul_f32 v[32:33], v[32:33], s[14:15]
	ds_write2_b64 v7, v[34:35], v[42:43] offset0:92 offset1:141
	v_pk_add_f32 v[20:21], v[20:21], v[38:39] neg_lo:[0,1] neg_hi:[0,1]
	v_mov_b32_e32 v34, v24
	v_mov_b32_e32 v35, v27
	;; [unrolled: 1-line block ×6, first 2 shown]
	v_pk_fma_f32 v[34:35], v[20:21], s[6:7], v[34:35] op_sel_hi:[1,0,1] neg_lo:[1,0,1] neg_hi:[1,0,1]
	v_pk_fma_f32 v[36:37], v[22:23], s[8:9], v[36:37] op_sel_hi:[1,0,1] neg_lo:[1,0,1] neg_hi:[1,0,1]
	v_pk_fma_f32 v[20:21], v[20:21], s[6:7], v[26:27] op_sel_hi:[1,0,1] neg_lo:[0,0,1] neg_hi:[0,0,1]
	v_pk_fma_f32 v[22:23], v[22:23], s[8:9], v[30:31] op_sel_hi:[1,0,1] neg_lo:[0,0,1] neg_hi:[0,0,1]
	v_pk_add_f32 v[34:35], v[34:35], v[40:41]
	v_pk_fma_f32 v[36:37], v[28:29], s[12:13], v[36:37] op_sel_hi:[1,0,1]
	v_pk_add_f32 v[20:21], v[20:21], v[40:41]
	v_pk_fma_f32 v[22:23], v[28:29], s[12:13], v[22:23] op_sel_hi:[1,0,1]
	v_pk_add_f32 v[38:39], v[34:35], v[36:37]
	v_pk_add_f32 v[34:35], v[34:35], v[36:37] neg_lo:[0,1] neg_hi:[0,1]
	v_pk_add_f32 v[24:25], v[20:21], v[22:23] neg_lo:[0,1] neg_hi:[0,1]
	v_pk_add_f32 v[20:21], v[20:21], v[22:23]
	v_mov_b32_e32 v22, v38
	v_mov_b32_e32 v23, v35
	;; [unrolled: 1-line block ×4, first 2 shown]
	v_accvgpr_read_b32 v48, a180
	ds_write2_b64 v7, v[22:23], v[26:27] offset0:190 offset1:239
	v_mov_b32_e32 v21, v25
	v_mov_b32_e32 v35, v39
	v_accvgpr_read_b32 v7, a244
	v_accvgpr_read_b32 v49, a181
	ds_write2_b64 v7, v[20:21], v[34:35] offset0:32 offset1:81
	v_accvgpr_read_b32 v20, a117
	v_mov_b32_e32 v21, v49
	v_mov_b32_e32 v22, v133
	;; [unrolled: 1-line block ×3, first 2 shown]
	v_accvgpr_read_b32 v40, a120
	v_accvgpr_read_b32 v50, a182
	v_pk_mul_f32 v[20:21], v[20:21], v[22:23]
	v_accvgpr_read_b32 v22, a116
	v_mov_b32_e32 v23, v48
	v_mov_b32_e32 v24, v132
	;; [unrolled: 1-line block ×3, first 2 shown]
	v_accvgpr_read_b32 v41, a121
	v_accvgpr_read_b32 v36, a116
	;; [unrolled: 1-line block ×3, first 2 shown]
	v_pk_fma_f32 v[26:27], v[22:23], v[24:25], v[20:21]
	v_pk_fma_f32 v[20:21], v[22:23], v[24:25], v[20:21] neg_lo:[0,0,1] neg_hi:[0,0,1]
	v_mov_b32_e32 v22, v50
	v_mov_b32_e32 v23, v41
	;; [unrolled: 1-line block ×4, first 2 shown]
	v_accvgpr_read_b32 v39, a119
	v_pk_mul_f32 v[22:23], v[22:23], v[24:25]
	v_mov_b32_e32 v24, v51
	v_mov_b32_e32 v25, v40
	;; [unrolled: 1-line block ×4, first 2 shown]
	v_accvgpr_read_b32 v38, a118
	v_mov_b32_e32 v33, v160
	v_mov_b32_e32 v34, v49
	;; [unrolled: 1-line block ×4, first 2 shown]
	v_accvgpr_read_b32 v43, a123
	v_pk_fma_f32 v[30:31], v[24:25], v[28:29], v[22:23]
	v_pk_fma_f32 v[22:23], v[24:25], v[28:29], v[22:23] neg_lo:[0,0,1] neg_hi:[0,0,1]
	v_accvgpr_read_b32 v37, a117
	v_mov_b32_e32 v29, v161
	v_pk_mul_f32 v[32:33], v[34:35], v[32:33]
	v_mov_b32_e32 v34, v48
	v_mov_b32_e32 v35, v38
	;; [unrolled: 1-line block ×3, first 2 shown]
	v_accvgpr_read_b32 v42, a122
	v_mul_f32_e32 v25, v39, v161
	v_pk_mov_b32 v[46:47], v[36:37], v[36:37] op_sel:[0,1]
	v_pk_fma_f32 v[28:29], v[34:35], v[28:29], v[32:33] neg_lo:[0,0,1] neg_hi:[0,0,1]
	v_mov_b32_e32 v35, v50
	v_mov_b32_e32 v50, v43
	;; [unrolled: 1-line block ×4, first 2 shown]
	v_mul_f32_e32 v39, v41, v129
	v_mul_f32_e32 v7, v43, v156
	v_pk_mul_f32 v[36:37], v[50:51], v[36:37]
	v_mov_b32_e32 v34, v42
	v_fmac_f32_e32 v39, v40, v128
	v_fma_f32 v40, v42, v157, -v7
	v_mov_b32_e32 v42, v156
	v_mov_b32_e32 v43, v153
	v_pk_fma_f32 v[32:33], v[48:49], v[138:139], v[32:33]
	v_pk_fma_f32 v[44:45], v[34:35], v[42:43], v[36:37]
	v_pk_fma_f32 v[34:35], v[34:35], v[42:43], v[36:37] neg_lo:[0,0,1] neg_hi:[0,0,1]
	v_mul_f32_e32 v7, v47, v132
	v_fmac_f32_e32 v25, v38, v160
	v_fma_f32 v36, v46, v133, -v7
	v_mov_b32_e32 v33, v29
	v_mov_b32_e32 v31, v23
	;; [unrolled: 1-line block ×6, first 2 shown]
	v_add_f32_e32 v43, v36, v40
	v_mov_b32_e32 v24, v29
	v_mov_b32_e32 v38, v23
	v_add_f32_e32 v28, v25, v39
	v_pk_add_f32 v[22:23], v[26:27], v[44:45]
	v_mov_b32_e32 v26, v35
	v_mov_b32_e32 v27, v30
	v_pk_add_f32 v[30:31], v[32:33], v[30:31]
	v_mov_b32_e32 v20, v21
	v_mov_b32_e32 v21, v32
	v_pk_add_f32 v[36:37], v[36:37], v[40:41] neg_lo:[0,1] neg_hi:[0,1]
	v_pk_add_f32 v[24:25], v[24:25], v[38:39] neg_lo:[0,1] neg_hi:[0,1]
	;; [unrolled: 1-line block ×3, first 2 shown]
	v_mov_b32_e32 v26, v30
	v_mov_b32_e32 v27, v43
	;; [unrolled: 1-line block ×4, first 2 shown]
	v_pk_add_f32 v[26:27], v[26:27], v[32:33] neg_lo:[0,1] neg_hi:[0,1]
	v_mov_b32_e32 v32, v20
	v_mov_b32_e32 v33, v37
	;; [unrolled: 1-line block ×4, first 2 shown]
	v_pk_add_f32 v[32:33], v[32:33], v[34:35] neg_lo:[0,1] neg_hi:[0,1]
	v_mov_b32_e32 v34, v36
	v_pk_add_f32 v[38:39], v[20:21], v[24:25]
	v_mov_b32_e32 v21, v25
	v_mov_b32_e32 v29, v31
	;; [unrolled: 1-line block ×3, first 2 shown]
	v_pk_add_f32 v[34:35], v[34:35], v[20:21] neg_lo:[0,1] neg_hi:[0,1]
	v_pk_add_f32 v[40:41], v[22:23], v[30:31] neg_lo:[0,1] neg_hi:[0,1]
	v_mov_b32_e32 v31, v23
	v_pk_add_f32 v[20:21], v[28:29], v[42:43]
	v_pk_add_f32 v[20:21], v[30:31], v[20:21]
	;; [unrolled: 1-line block ×3, first 2 shown]
	v_pk_mul_f32 v[26:27], v[26:27], s[10:11]
	v_pk_mul_f32 v[32:33], v[32:33], s[20:21]
	v_pk_fma_f32 v[44:45], v[20:21], s[18:19], v[30:31] op_sel_hi:[1,0,1] neg_lo:[1,0,0] neg_hi:[1,0,0]
	v_pk_fma_f32 v[20:21], v[40:41], s[16:17], v[26:27]
	v_pk_add_f32 v[38:39], v[38:39], v[36:37]
	v_pk_add_f32 v[22:23], v[20:21], v[44:45]
	v_pk_fma_f32 v[20:21], v[34:35], s[14:15], v[32:33]
	v_pk_fma_f32 v[46:47], v[38:39], s[12:13], v[20:21] op_sel_hi:[1,0,1]
	v_pk_add_f32 v[20:21], v[22:23], v[46:47] neg_lo:[0,1] neg_hi:[0,1]
	v_pk_add_f32 v[22:23], v[22:23], v[46:47]
	v_accvgpr_read_b32 v54, a112
	v_accvgpr_read_b32 v62, a148
	v_mov_b32_e32 v46, v22
	v_mov_b32_e32 v47, v21
	v_accvgpr_read_b32 v7, a242
	v_accvgpr_read_b32 v57, a115
	;; [unrolled: 1-line block ×3, first 2 shown]
	ds_write2_b64 v7, v[30:31], v[46:47] offset0:179 offset1:228
	v_accvgpr_read_b32 v55, a113
	v_accvgpr_read_b32 v56, a114
	v_mul_f32_e32 v31, v57, v9
	v_mov_b32_e32 v47, v8
	v_mov_b32_e32 v48, v63
	v_mov_b32_e32 v49, v57
	v_mov_b32_e32 v46, v141
	v_accvgpr_read_b32 v66, a152
	v_fmac_f32_e32 v31, v56, v8
	v_accvgpr_read_b32 v64, a150
	v_pk_mul_f32 v[46:47], v[48:49], v[46:47]
	v_mov_b32_e32 v48, v62
	v_mov_b32_e32 v49, v56
	;; [unrolled: 1-line block ×7, first 2 shown]
	v_accvgpr_read_b32 v67, a153
	v_accvgpr_read_b32 v65, a151
	v_pk_fma_f32 v[8:9], v[48:49], v[8:9], v[46:47] neg_lo:[0,0,1] neg_hi:[0,0,1]
	v_mov_b32_e32 v49, v141
	v_mov_b32_e32 v48, v134
	v_mul_f32_e32 v7, v55, v134
	v_pk_mul_f32 v[50:51], v[56:57], v[50:51]
	v_mov_b32_e32 v55, v62
	v_mov_b32_e32 v59, v130
	;; [unrolled: 1-line block ×5, first 2 shown]
	v_fma_f32 v52, v54, v135, -v7
	v_pk_fma_f32 v[56:57], v[54:55], v[48:49], v[50:51]
	v_pk_fma_f32 v[48:49], v[54:55], v[48:49], v[50:51] neg_lo:[0,0,1] neg_hi:[0,0,1]
	v_accvgpr_read_b32 v69, a155
	v_mov_b32_e32 v55, v131
	v_pk_mul_f32 v[58:59], v[60:61], v[58:59]
	v_mov_b32_e32 v60, v65
	v_mov_b32_e32 v61, v66
	;; [unrolled: 1-line block ×3, first 2 shown]
	v_pk_fma_f32 v[46:47], v[62:63], v[140:141], v[46:47]
	v_accvgpr_read_b32 v68, a154
	v_pk_fma_f32 v[62:63], v[60:61], v[54:55], v[58:59]
	v_pk_fma_f32 v[54:55], v[60:61], v[54:55], v[58:59] neg_lo:[0,0,1] neg_hi:[0,0,1]
	v_mov_b32_e32 v59, v64
	v_mov_b32_e32 v64, v69
	v_mov_b32_e32 v60, v3
	v_mov_b32_e32 v61, v4
	v_mul_f32_e32 v4, v69, v2
	v_mul_f32_e32 v51, v67, v131
	v_pk_mul_f32 v[60:61], v[64:65], v[60:61]
	v_mov_b32_e32 v58, v68
	v_fma_f32 v64, v68, v3, -v4
	v_mov_b32_e32 v3, v5
	v_fmac_f32_e32 v51, v66, v130
	v_pk_fma_f32 v[66:67], v[58:59], v[2:3], v[60:61]
	v_pk_fma_f32 v[58:59], v[58:59], v[2:3], v[60:61] neg_lo:[0,0,1] neg_hi:[0,0,1]
	v_pk_add_f32 v[2:3], v[28:29], v[42:43] neg_lo:[0,1] neg_hi:[0,1]
	v_pk_add_f32 v[4:5], v[24:25], v[36:37] neg_lo:[0,1] neg_hi:[0,1]
	v_pk_mul_f32 v[24:25], v[40:41], s[16:17]
	v_pk_mul_f32 v[28:29], v[34:35], s[14:15]
	v_mov_b32_e32 v34, v24
	v_mov_b32_e32 v35, v27
	;; [unrolled: 1-line block ×6, first 2 shown]
	v_pk_fma_f32 v[34:35], v[2:3], s[6:7], v[34:35] op_sel_hi:[1,0,1] neg_lo:[1,0,1] neg_hi:[1,0,1]
	v_pk_fma_f32 v[36:37], v[4:5], s[8:9], v[36:37] op_sel_hi:[1,0,1] neg_lo:[1,0,1] neg_hi:[1,0,1]
	;; [unrolled: 1-line block ×4, first 2 shown]
	v_pk_add_f32 v[34:35], v[34:35], v[44:45]
	v_pk_fma_f32 v[36:37], v[38:39], s[12:13], v[36:37] op_sel_hi:[1,0,1]
	v_pk_add_f32 v[2:3], v[2:3], v[44:45]
	v_pk_fma_f32 v[4:5], v[38:39], s[12:13], v[4:5] op_sel_hi:[1,0,1]
	v_pk_add_f32 v[40:41], v[34:35], v[36:37] neg_lo:[0,1] neg_hi:[0,1]
	v_pk_add_f32 v[34:35], v[34:35], v[36:37]
	v_pk_add_f32 v[32:33], v[2:3], v[4:5]
	v_pk_add_f32 v[24:25], v[2:3], v[4:5] neg_lo:[0,1] neg_hi:[0,1]
	v_mov_b32_e32 v47, v9
	v_mov_b32_e32 v30, v9
	;; [unrolled: 1-line block ×10, first 2 shown]
	v_accvgpr_read_b32 v7, a220
	v_mov_b32_e32 v53, v56
	v_mov_b32_e32 v65, v66
	v_add_f32_e32 v26, v31, v51
	v_pk_add_f32 v[8:9], v[30:31], v[50:51] neg_lo:[0,1] neg_hi:[0,1]
	v_pk_add_f32 v[36:37], v[56:57], v[66:67]
	v_mov_b32_e32 v28, v59
	v_mov_b32_e32 v29, v62
	v_pk_add_f32 v[38:39], v[46:47], v[62:63]
	v_mov_b32_e32 v30, v49
	v_mov_b32_e32 v31, v46
	;; [unrolled: 1-line block ×4, first 2 shown]
	ds_write2_b64 v7, v[2:3], v[4:5] offset0:21 offset1:70
	v_add_f32_e32 v5, v52, v64
	v_pk_add_f32 v[2:3], v[52:53], v[64:65] neg_lo:[0,1] neg_hi:[0,1]
	v_pk_add_f32 v[42:43], v[28:29], v[30:31] neg_lo:[0,1] neg_hi:[0,1]
	ds_write2_b64 v7, v[32:33], v[40:41] offset0:119 offset1:168
	v_mov_b32_e32 v27, v39
	v_mov_b32_e32 v4, v36
	;; [unrolled: 1-line block ×3, first 2 shown]
	v_accvgpr_read_b32 v13, a221
	v_mov_b32_e32 v30, v38
	v_mov_b32_e32 v31, v5
	v_mov_b32_e32 v32, v26
	v_mov_b32_e32 v33, v37
	ds_write_b64 v13, v[6:7] offset:7840
	v_mov_b32_e32 v6, v42
	v_mov_b32_e32 v7, v3
	;; [unrolled: 1-line block ×4, first 2 shown]
	v_pk_add_f32 v[40:41], v[36:37], v[38:39] neg_lo:[0,1] neg_hi:[0,1]
	v_mov_b32_e32 v39, v37
	v_pk_add_f32 v[36:37], v[26:27], v[4:5]
	v_pk_add_f32 v[32:33], v[30:31], v[32:33] neg_lo:[0,1] neg_hi:[0,1]
	v_pk_add_f32 v[10:11], v[42:43], v[8:9]
	v_pk_add_f32 v[6:7], v[6:7], v[34:35] neg_lo:[0,1] neg_hi:[0,1]
	v_mov_b32_e32 v34, v2
	v_mov_b32_e32 v43, v9
	v_pk_add_f32 v[36:37], v[38:39], v[36:37]
	v_mov_b32_e32 v13, v15
	v_accvgpr_read_b32 v14, a219
	v_pk_add_f32 v[34:35], v[34:35], v[42:43] neg_lo:[0,1] neg_hi:[0,1]
	v_pk_add_f32 v[0:1], v[36:37], v[0:1]
	ds_write_b64 v14, v[12:13] offset:10584
	v_pk_mul_f32 v[12:13], v[32:33], s[10:11]
	v_pk_mul_f32 v[6:7], v[6:7], s[20:21]
	v_mov_b32_e32 v17, v19
	v_accvgpr_read_b32 v21, a218
	v_pk_add_f32 v[10:11], v[10:11], v[2:3]
	v_pk_fma_f32 v[14:15], v[36:37], s[18:19], v[0:1] op_sel_hi:[1,0,1] neg_lo:[1,0,0] neg_hi:[1,0,0]
	v_pk_fma_f32 v[18:19], v[40:41], s[16:17], v[12:13]
	ds_write_b64 v21, v[16:17] offset:13328
	v_pk_fma_f32 v[16:17], v[34:35], s[14:15], v[6:7]
	v_pk_add_f32 v[18:19], v[18:19], v[14:15]
	v_pk_fma_f32 v[16:17], v[10:11], s[12:13], v[16:17] op_sel_hi:[1,0,1]
	v_pk_add_f32 v[32:33], v[18:19], v[16:17] neg_lo:[0,1] neg_hi:[0,1]
	v_pk_add_f32 v[16:17], v[18:19], v[16:17]
	v_mov_b32_e32 v21, v23
	v_pk_mul_f32 v[18:19], v[40:41], s[16:17]
	v_accvgpr_read_b32 v40, a217
	v_pk_mul_f32 v[34:35], v[34:35], s[14:15]
	ds_write_b64 v40, v[20:21] offset:16072
	v_mov_b32_e32 v20, v16
	v_mov_b32_e32 v21, v33
	v_accvgpr_read_b32 v16, a211
	ds_write2_b64 v16, v[0:1], v[20:21] offset0:10 offset1:59
	v_pk_add_f32 v[0:1], v[26:27], v[4:5] neg_lo:[0,1] neg_hi:[0,1]
	v_pk_add_f32 v[2:3], v[8:9], v[2:3] neg_lo:[0,1] neg_hi:[0,1]
	v_mov_b32_e32 v4, v18
	v_mov_b32_e32 v5, v13
	;; [unrolled: 1-line block ×6, first 2 shown]
	v_pk_fma_f32 v[4:5], v[0:1], s[6:7], v[4:5] op_sel_hi:[1,0,1] neg_lo:[1,0,1] neg_hi:[1,0,1]
	v_pk_fma_f32 v[8:9], v[2:3], s[8:9], v[8:9] op_sel_hi:[1,0,1] neg_lo:[1,0,1] neg_hi:[1,0,1]
	;; [unrolled: 1-line block ×4, first 2 shown]
	v_pk_add_f32 v[4:5], v[4:5], v[14:15]
	v_pk_fma_f32 v[8:9], v[10:11], s[12:13], v[8:9] op_sel_hi:[1,0,1]
	v_pk_add_f32 v[0:1], v[0:1], v[14:15]
	v_pk_fma_f32 v[2:3], v[10:11], s[12:13], v[2:3] op_sel_hi:[1,0,1]
	v_pk_add_f32 v[20:21], v[4:5], v[8:9] neg_lo:[0,1] neg_hi:[0,1]
	v_pk_add_f32 v[4:5], v[4:5], v[8:9]
	v_pk_add_f32 v[6:7], v[0:1], v[2:3]
	v_pk_add_f32 v[0:1], v[0:1], v[2:3] neg_lo:[0,1] neg_hi:[0,1]
	v_mov_b32_e32 v8, v4
	v_mov_b32_e32 v9, v21
	;; [unrolled: 1-line block ×4, first 2 shown]
	v_accvgpr_read_b32 v0, a211
	v_mov_b32_e32 v7, v1
	v_mov_b32_e32 v21, v5
	ds_write2_b64 v0, v[8:9], v[2:3] offset0:108 offset1:157
	ds_write2_b64 v0, v[6:7], v[20:21] offset0:206 offset1:255
	v_mov_b32_e32 v33, v17
	v_accvgpr_read_b32 v0, a216
	ds_write_b64 v0, v[32:33] offset:18816
	s_waitcnt lgkmcnt(0)
	; wave barrier
	s_waitcnt lgkmcnt(0)
	ds_read2_b64 v[0:3], v187 offset0:38 offset1:87
	ds_read2_b64 v[12:15], v185 offset0:174 offset1:223
	;; [unrolled: 1-line block ×3, first 2 shown]
	v_accvgpr_read_b32 v46, a234
	v_accvgpr_read_b32 v47, a235
	v_accvgpr_read_b32 v48, a236
	v_accvgpr_read_b32 v49, a237
	v_mov_b32_e32 v44, v234
	v_mov_b32_e32 v45, v47
	;; [unrolled: 1-line block ×5, first 2 shown]
	ds_read2_b64 v[16:19], v221 offset0:92 offset1:141
	ds_read2_b64 v[4:7], v195 offset0:130 offset1:179
	;; [unrolled: 1-line block ×4, first 2 shown]
	v_mov_b32_e32 v42, v229
	v_mov_b32_e32 v43, v233
	s_waitcnt lgkmcnt(6)
	v_mov_b32_e32 v26, v3
	s_waitcnt lgkmcnt(4)
	v_mov_b32_e32 v27, v10
	v_accvgpr_read_b32 v196, a101
	v_mov_b32_e32 v38, v228
	v_mov_b32_e32 v39, v232
	;; [unrolled: 1-line block ×4, first 2 shown]
	v_pk_mul_f32 v[26:27], v[42:43], v[26:27]
	s_waitcnt lgkmcnt(3)
	v_mov_b32_e32 v34, v16
	s_waitcnt lgkmcnt(2)
	v_mov_b32_e32 v35, v6
	v_mov_b32_e32 v28, v235
	v_accvgpr_read_b32 v29, a234
	v_pk_fma_f32 v[32:33], v[38:39], v[20:21], v[26:27]
	v_pk_fma_f32 v[26:27], v[38:39], v[20:21], v[26:27] neg_lo:[0,0,1] neg_hi:[0,0,1]
	v_mov_b32_e32 v20, v17
	v_mov_b32_e32 v21, v7
	v_pk_mul_f32 v[34:35], v[44:45], v[34:35]
	ds_read2_b64 v[58:61], v196 offset0:54 offset1:103
	v_accvgpr_read_b32 v220, a206
	v_mov_b32_e32 v30, v233
	v_mov_b32_e32 v31, v231
	v_pk_fma_f32 v[38:39], v[28:29], v[20:21], v[34:35]
	v_pk_fma_f32 v[34:35], v[28:29], v[20:21], v[34:35] neg_lo:[0,0,1] neg_hi:[0,0,1]
	v_mov_b32_e32 v20, v11
	v_mov_b32_e32 v21, v12
	v_pk_mul_f32 v[20:21], v[30:31], v[20:21]
	ds_read2_b64 v[88:91], v220 offset0:100 offset1:149
	v_mov_b32_e32 v28, v10
	v_pk_fma_f32 v[40:41], v[232:233], v[10:11], v[20:21]
	s_waitcnt lgkmcnt(3)
	v_mov_b32_e32 v10, v47
	v_mov_b32_e32 v11, v16
	;; [unrolled: 1-line block ×5, first 2 shown]
	v_pk_mul_f32 v[10:11], v[234:235], v[10:11]
	v_mov_b32_e32 v16, v46
	v_accvgpr_read_b32 v22, a231
	v_mov_b32_e32 v23, v217
	v_pk_fma_f32 v[52:53], v[24:25], v[28:29], v[20:21] neg_lo:[0,0,1] neg_hi:[0,0,1]
	v_pk_fma_f32 v[66:67], v[50:51], v[16:17], v[10:11]
	v_pk_fma_f32 v[64:65], v[50:51], v[16:17], v[10:11] neg_lo:[0,0,1] neg_hi:[0,0,1]
	s_waitcnt lgkmcnt(2)
	v_mov_b32_e32 v16, v55
	s_waitcnt lgkmcnt(1)
	v_mov_b32_e32 v17, v58
	v_accvgpr_read_b32 v28, a250
	v_accvgpr_read_b32 v36, a230
	v_mov_b32_e32 v37, v216
	v_mov_b32_e32 v10, v54
	;; [unrolled: 1-line block ×3, first 2 shown]
	v_pk_mul_f32 v[16:17], v[22:23], v[16:17]
	v_accvgpr_read_b32 v29, a251
	v_pk_fma_f32 v[24:25], v[36:37], v[10:11], v[16:17]
	v_pk_fma_f32 v[22:23], v[36:37], v[10:11], v[16:17] neg_lo:[0,0,1] neg_hi:[0,0,1]
	v_mov_b32_e32 v10, v218
	v_accvgpr_read_b32 v30, a252
	v_accvgpr_read_b32 v31, a253
	v_mov_b32_e32 v11, v29
	v_mov_b32_e32 v16, v18
	s_waitcnt lgkmcnt(0)
	v_mov_b32_e32 v17, v88
	v_pk_mul_f32 v[10:11], v[10:11], v[16:17]
	v_mov_b32_e32 v17, v28
	v_accvgpr_read_b32 v28, a230
	v_accvgpr_read_b32 v31, a233
	v_mov_b32_e32 v16, v219
	v_mov_b32_e32 v20, v19
	;; [unrolled: 1-line block ×3, first 2 shown]
	v_mul_f32_e32 v69, v231, v13
	v_accvgpr_read_b32 v30, a232
	v_mul_f32_e32 v45, v31, v15
	v_pk_fma_f32 v[36:37], v[16:17], v[20:21], v[10:11]
	v_pk_fma_f32 v[42:43], v[16:17], v[20:21], v[10:11] neg_lo:[0,0,1] neg_hi:[0,0,1]
	v_fmac_f32_e32 v69, v230, v12
	v_fmac_f32_e32 v45, v30, v14
	v_mov_b32_e32 v11, v15
	v_mov_b32_e32 v13, v14
	;; [unrolled: 1-line block ×5, first 2 shown]
	v_pk_mul_f32 v[12:13], v[14:15], v[12:13]
	v_mov_b32_e32 v14, v216
	v_mov_b32_e32 v15, v30
	;; [unrolled: 1-line block ×3, first 2 shown]
	v_pk_fma_f32 v[70:71], v[14:15], v[10:11], v[12:13] neg_lo:[0,0,1] neg_hi:[0,0,1]
	v_accvgpr_read_b32 v14, a234
	v_accvgpr_read_b32 v15, a235
	;; [unrolled: 1-line block ×3, first 2 shown]
	v_mul_f32_e32 v81, v15, v7
	v_accvgpr_read_b32 v29, a231
	v_accvgpr_read_b32 v16, a236
	v_fmac_f32_e32 v81, v14, v6
	v_mul_f32_e32 v6, v17, v46
	v_accvgpr_read_b32 v76, a250
	v_pk_mov_b32 v[20:21], v[28:29], v[28:29] op_sel:[0,1]
	v_fma_f32 v28, v16, v47, -v6
	v_accvgpr_read_b32 v14, a250
	v_accvgpr_read_b32 v79, a253
	;; [unrolled: 1-line block ×4, first 2 shown]
	v_mov_b32_e32 v11, v218
	v_mov_b32_e32 v218, v79
	v_pk_fma_f32 v[62:63], v[216:217], v[58:59], v[12:13]
	v_mov_b32_e32 v12, v49
	v_mov_b32_e32 v13, v18
	v_accvgpr_read_b32 v16, a252
	v_mul_f32_e32 v6, v17, v48
	v_accvgpr_read_b32 v77, a251
	v_pk_mul_f32 v[12:13], v[218:219], v[12:13]
	v_mov_b32_e32 v10, v16
	v_fma_f32 v78, v16, v49, -v6
	v_mov_b32_e32 v6, v48
	v_mov_b32_e32 v7, v19
	v_pk_fma_f32 v[76:77], v[10:11], v[6:7], v[12:13]
	v_pk_fma_f32 v[72:73], v[10:11], v[6:7], v[12:13] neg_lo:[0,0,1] neg_hi:[0,0,1]
	ds_read2_b64 v[10:13], v242 offset0:16 offset1:65
	v_mul_f32_e32 v6, v21, v54
	v_accvgpr_read_b32 v15, a251
	v_fma_f32 v94, v20, v55, -v6
	v_accvgpr_read_b32 v18, a226
	v_mul_f32_e32 v75, v15, v89
	v_accvgpr_read_b32 v21, a229
	v_fmac_f32_e32 v75, v14, v88
	v_mov_b32_e32 v6, v225
	v_accvgpr_read_b32 v20, a228
	v_mov_b32_e32 v7, v21
	v_mov_b32_e32 v14, v61
	s_waitcnt lgkmcnt(0)
	v_mov_b32_e32 v15, v10
	v_accvgpr_read_b32 v19, a227
	v_pk_mul_f32 v[6:7], v[6:7], v[14:15]
	v_mov_b32_e32 v14, v224
	v_mov_b32_e32 v15, v20
	;; [unrolled: 1-line block ×4, first 2 shown]
	v_mul_f32_e32 v11, v21, v11
	v_pk_fma_f32 v[46:47], v[14:15], v[16:17], v[6:7] neg_lo:[0,0,1] neg_hi:[0,0,1]
	v_pk_fma_f32 v[6:7], v[224:225], v[60:61], v[6:7]
	v_mov_b32_e32 v17, v60
	v_mov_b32_e32 v16, v57
	v_fmac_f32_e32 v11, v20, v10
	v_mov_b32_e32 v20, v19
	v_mov_b32_e32 v21, v225
	;; [unrolled: 1-line block ×4, first 2 shown]
	v_mul_f32_e32 v7, v19, v56
	v_pk_mul_f32 v[16:17], v[20:21], v[16:17]
	v_mov_b32_e32 v19, v224
	v_pk_fma_f32 v[50:51], v[18:19], v[14:15], v[16:17]
	v_pk_fma_f32 v[48:49], v[18:19], v[14:15], v[16:17] neg_lo:[0,0,1] neg_hi:[0,0,1]
	ds_read2_b64 v[14:17], v221 offset0:190 offset1:239
	v_mov_b32_e32 v21, v90
	v_mov_b32_e32 v30, v226
	;; [unrolled: 1-line block ×3, first 2 shown]
	v_fma_f32 v52, v18, v57, -v7
	s_waitcnt lgkmcnt(0)
	v_mov_b32_e32 v20, v14
	v_mov_b32_e32 v19, v91
	v_pk_mul_f32 v[20:21], v[30:31], v[20:21]
	v_mov_b32_e32 v30, v227
	v_mov_b32_e32 v31, v212
	;; [unrolled: 1-line block ×3, first 2 shown]
	v_pk_fma_f32 v[56:57], v[30:31], v[18:19], v[20:21]
	v_pk_fma_f32 v[58:59], v[30:31], v[18:19], v[20:21] neg_lo:[0,0,1] neg_hi:[0,0,1]
	ds_read2_b64 v[18:21], v194 offset0:108 offset1:157
	v_mov_b32_e32 v31, v226
	v_mov_b32_e32 v226, v215
	;; [unrolled: 1-line block ×4, first 2 shown]
	s_waitcnt lgkmcnt(0)
	v_mov_b32_e32 v60, v19
	v_pk_mul_f32 v[82:83], v[226:227], v[60:61]
	v_mov_b32_e32 v14, v18
	v_mul_f32_e32 v2, v229, v2
	v_pk_fma_f32 v[60:61], v[30:31], v[14:15], v[82:83]
	v_pk_fma_f32 v[14:15], v[30:31], v[14:15], v[82:83] neg_lo:[0,0,1] neg_hi:[0,0,1]
	v_fma_f32 v82, v228, v3, -v2
	v_mul_f32_e32 v2, v215, v18
	v_mov_b32_e32 v41, v53
	v_mov_b32_e32 v39, v35
	;; [unrolled: 1-line block ×4, first 2 shown]
	ds_read2_b64 v[100:103], v193 offset1:49
	v_fma_f32 v2, v214, v19, -v2
	v_mov_b32_e32 v83, v32
	v_mov_b32_e32 v29, v66
	v_add_f32_e32 v31, v82, v28
	v_mov_b32_e32 v68, v53
	v_mov_b32_e32 v80, v35
	v_add_f32_e32 v26, v69, v81
	v_pk_add_f32 v[18:19], v[32:33], v[66:67]
	v_mov_b32_e32 v32, v65
	v_mov_b32_e32 v33, v38
	v_pk_add_f32 v[38:39], v[40:41], v[38:39]
	v_mov_b32_e32 v64, v27
	v_mov_b32_e32 v65, v40
	v_pk_add_f32 v[28:29], v[82:83], v[28:29] neg_lo:[0,1] neg_hi:[0,1]
	v_pk_add_f32 v[34:35], v[68:69], v[80:81] neg_lo:[0,1] neg_hi:[0,1]
	;; [unrolled: 1-line block ×3, first 2 shown]
	v_mov_b32_e32 v40, v38
	v_mov_b32_e32 v41, v31
	;; [unrolled: 1-line block ×6, first 2 shown]
	v_pk_add_f32 v[64:65], v[40:41], v[64:65] neg_lo:[0,1] neg_hi:[0,1]
	v_mov_b32_e32 v40, v32
	v_mov_b32_e32 v41, v29
	;; [unrolled: 1-line block ×4, first 2 shown]
	v_pk_add_f32 v[92:93], v[18:19], v[38:39] neg_lo:[0,1] neg_hi:[0,1]
	v_mov_b32_e32 v39, v19
	v_pk_add_f32 v[18:19], v[26:27], v[30:31]
	v_mul_f32_e32 v55, v213, v91
	v_pk_add_f32 v[66:67], v[40:41], v[66:67] neg_lo:[0,1] neg_hi:[0,1]
	v_mov_b32_e32 v40, v28
	v_mov_b32_e32 v41, v33
	v_pk_add_f32 v[68:69], v[32:33], v[34:35]
	v_mov_b32_e32 v33, v35
	v_pk_add_f32 v[18:19], v[38:39], v[18:19]
	v_fmac_f32_e32 v55, v212, v90
	v_pk_add_f32 v[90:91], v[40:41], v[32:33] neg_lo:[0,1] neg_hi:[0,1]
	v_pk_mul_f32 v[82:83], v[64:65], s[10:11]
	v_pk_mul_f32 v[80:81], v[66:67], s[20:21]
	s_waitcnt lgkmcnt(0)
	v_pk_add_f32 v[64:65], v[18:19], v[100:101]
	v_pk_add_f32 v[40:41], v[68:69], v[28:29]
	v_pk_fma_f32 v[88:89], v[18:19], s[18:19], v[64:65] op_sel_hi:[1,0,1] neg_lo:[1,0,0] neg_hi:[1,0,0]
	v_pk_fma_f32 v[18:19], v[92:93], s[16:17], v[82:83]
	v_pk_fma_f32 v[32:33], v[90:91], s[14:15], v[80:81]
	v_pk_add_f32 v[18:19], v[18:19], v[88:89]
	v_pk_fma_f32 v[32:33], v[40:41], s[12:13], v[32:33] op_sel_hi:[1,0,1]
	v_mov_b32_e32 v63, v71
	v_mov_b32_e32 v37, v43
	;; [unrolled: 1-line block ×4, first 2 shown]
	v_pk_add_f32 v[38:39], v[18:19], v[32:33]
	v_pk_add_f32 v[32:33], v[18:19], v[32:33] neg_lo:[0,1] neg_hi:[0,1]
	v_mov_b32_e32 v95, v24
	v_mov_b32_e32 v79, v76
	v_add_f32_e32 v69, v94, v78
	v_mov_b32_e32 v44, v71
	v_mov_b32_e32 v74, v43
	v_add_f32_e32 v72, v45, v75
	v_pk_add_f32 v[24:25], v[24:25], v[76:77]
	v_mov_b32_e32 v18, v73
	v_mov_b32_e32 v19, v36
	v_pk_add_f32 v[36:37], v[62:63], v[36:37]
	v_mov_b32_e32 v22, v23
	v_mov_b32_e32 v23, v62
	v_pk_add_f32 v[66:67], v[94:95], v[78:79] neg_lo:[0,1] neg_hi:[0,1]
	v_pk_add_f32 v[70:71], v[44:45], v[74:75] neg_lo:[0,1] neg_hi:[0,1]
	;; [unrolled: 1-line block ×3, first 2 shown]
	v_mov_b32_e32 v22, v36
	v_mov_b32_e32 v23, v69
	;; [unrolled: 1-line block ×4, first 2 shown]
	v_pk_add_f32 v[74:75], v[22:23], v[42:43] neg_lo:[0,1] neg_hi:[0,1]
	v_mov_b32_e32 v22, v18
	v_mov_b32_e32 v23, v67
	;; [unrolled: 1-line block ×4, first 2 shown]
	v_pk_add_f32 v[76:77], v[22:23], v[42:43] neg_lo:[0,1] neg_hi:[0,1]
	v_mov_b32_e32 v22, v66
	v_mov_b32_e32 v23, v19
	v_pk_add_f32 v[78:79], v[18:19], v[70:71]
	v_mov_b32_e32 v19, v71
	v_mov_b32_e32 v73, v37
	v_mov_b32_e32 v68, v24
	v_pk_add_f32 v[18:19], v[22:23], v[18:19] neg_lo:[0,1] neg_hi:[0,1]
	v_pk_add_f32 v[62:63], v[24:25], v[36:37] neg_lo:[0,1] neg_hi:[0,1]
	v_mov_b32_e32 v37, v25
	v_pk_add_f32 v[22:23], v[72:73], v[68:69]
	v_pk_add_f32 v[94:95], v[36:37], v[22:23]
	v_mov_b32_e32 v22, v38
	v_mov_b32_e32 v23, v33
	ds_write_b64 v193, v[22:23] offset:2744
	v_pk_add_f32 v[22:23], v[26:27], v[30:31] neg_lo:[0,1] neg_hi:[0,1]
	v_pk_add_f32 v[24:25], v[34:35], v[28:29] neg_lo:[0,1] neg_hi:[0,1]
	v_pk_mul_f32 v[26:27], v[92:93], s[16:17]
	v_pk_mul_f32 v[28:29], v[90:91], s[14:15]
	v_mov_b32_e32 v30, v26
	v_mov_b32_e32 v31, v83
	;; [unrolled: 1-line block ×4, first 2 shown]
	v_pk_fma_f32 v[30:31], v[22:23], s[6:7], v[30:31] op_sel_hi:[1,0,1] neg_lo:[1,0,1] neg_hi:[1,0,1]
	v_pk_fma_f32 v[34:35], v[24:25], s[8:9], v[34:35] op_sel_hi:[1,0,1] neg_lo:[1,0,1] neg_hi:[1,0,1]
	v_pk_add_f32 v[30:31], v[30:31], v[88:89]
	v_pk_fma_f32 v[34:35], v[40:41], s[12:13], v[34:35] op_sel_hi:[1,0,1]
	v_mov_b32_e32 v83, v27
	v_mov_b32_e32 v81, v29
	v_pk_add_f32 v[36:37], v[30:31], v[34:35]
	v_pk_add_f32 v[30:31], v[30:31], v[34:35] neg_lo:[0,1] neg_hi:[0,1]
	v_pk_fma_f32 v[22:23], v[22:23], s[6:7], v[82:83] op_sel_hi:[1,0,1] neg_lo:[0,0,1] neg_hi:[0,0,1]
	v_pk_fma_f32 v[24:25], v[24:25], s[8:9], v[80:81] op_sel_hi:[1,0,1] neg_lo:[0,0,1] neg_hi:[0,0,1]
	v_mov_b32_e32 v34, v36
	v_mov_b32_e32 v35, v31
	v_pk_add_f32 v[22:23], v[22:23], v[88:89]
	v_pk_fma_f32 v[24:25], v[40:41], s[12:13], v[24:25] op_sel_hi:[1,0,1]
	v_mov_b32_e32 v53, v50
	v_mov_b32_e32 v3, v60
	;; [unrolled: 1-line block ×6, first 2 shown]
	ds_write_b64 v193, v[34:35] offset:5488
	v_pk_add_f32 v[34:35], v[22:23], v[24:25] neg_lo:[0,1] neg_hi:[0,1]
	v_pk_add_f32 v[22:23], v[22:23], v[24:25]
	v_add_f32_e32 v85, v52, v2
	v_pk_add_f32 v[86:87], v[52:53], v[2:3] neg_lo:[0,1] neg_hi:[0,1]
	v_mov_b32_e32 v10, v47
	v_mov_b32_e32 v54, v59
	v_add_f32_e32 v14, v11, v55
	v_pk_add_f32 v[2:3], v[50:51], v[60:61]
	v_mov_b32_e32 v46, v15
	v_mov_b32_e32 v47, v56
	v_pk_add_f32 v[50:51], v[6:7], v[56:57]
	v_mov_b32_e32 v48, v49
	v_mov_b32_e32 v49, v6
	v_mov_b32_e32 v24, v34
	v_mov_b32_e32 v25, v23
	v_mov_b32_e32 v23, v35
	v_mov_b32_e32 v31, v37
	v_mov_b32_e32 v33, v39
	v_pk_add_f32 v[10:11], v[10:11], v[54:55] neg_lo:[0,1] neg_hi:[0,1]
	v_pk_add_f32 v[6:7], v[46:47], v[48:49] neg_lo:[0,1] neg_hi:[0,1]
	v_mov_b32_e32 v46, v50
	v_mov_b32_e32 v47, v85
	;; [unrolled: 1-line block ×6, first 2 shown]
	v_accvgpr_read_b32 v183, a239
	v_pk_add_f32 v[104:105], v[94:95], v[102:103]
	ds_write_b64 v193, v[24:25] offset:8232
	ds_read2_b64 v[26:29], v193 offset0:98 offset1:147
	ds_write_b64 v193, v[22:23] offset:10976
	ds_write_b64 v193, v[30:31] offset:13720
	;; [unrolled: 1-line block ×3, first 2 shown]
	v_accvgpr_read_b32 v182, a238
	v_pk_add_f32 v[56:57], v[46:47], v[48:49] neg_lo:[0,1] neg_hi:[0,1]
	v_mov_b32_e32 v46, v6
	v_mov_b32_e32 v47, v87
	;; [unrolled: 1-line block ×4, first 2 shown]
	v_pk_add_f32 v[88:89], v[2:3], v[50:51] neg_lo:[0,1] neg_hi:[0,1]
	v_mov_b32_e32 v51, v3
	v_pk_add_f32 v[2:3], v[14:15], v[84:85]
	ds_read2_b64 v[90:93], v183 offset0:106 offset1:155
	ds_read2_b64 v[100:103], v196 offset0:152 offset1:201
	ds_read2_b64 v[112:115], v184 offset0:70 offset1:119
	ds_read2_b64 v[124:127], v195 offset0:32 offset1:81
	ds_read_b64 v[80:81], v193 offset:18816
	ds_read2_b64 v[22:25], v193 offset0:196 offset1:245
	ds_read2_b64 v[128:131], v242 offset0:114 offset1:163
	;; [unrolled: 1-line block ×6, first 2 shown]
	ds_write2_b64 v193, v[64:65], v[104:105] offset1:49
	v_pk_fma_f32 v[64:65], v[94:95], s[18:19], v[104:105] op_sel_hi:[1,0,1] neg_lo:[1,0,0] neg_hi:[1,0,0]
	v_pk_add_f32 v[94:95], v[46:47], v[48:49] neg_lo:[0,1] neg_hi:[0,1]
	v_mov_b32_e32 v46, v86
	v_mov_b32_e32 v47, v7
	v_pk_add_f32 v[54:55], v[6:7], v[10:11]
	v_mov_b32_e32 v7, v11
	v_pk_add_f32 v[96:97], v[50:51], v[2:3]
	v_pk_add_f32 v[50:51], v[72:73], v[68:69] neg_lo:[0,1] neg_hi:[0,1]
	v_pk_add_f32 v[52:53], v[70:71], v[66:67] neg_lo:[0,1] neg_hi:[0,1]
	v_pk_mul_f32 v[60:61], v[74:75], s[10:11]
	v_pk_mul_f32 v[58:59], v[76:77], s[20:21]
	;; [unrolled: 1-line block ×4, first 2 shown]
	v_pk_add_f32 v[82:83], v[46:47], v[6:7] neg_lo:[0,1] neg_hi:[0,1]
	v_mov_b32_e32 v2, v68
	v_mov_b32_e32 v3, v61
	;; [unrolled: 1-line block ×4, first 2 shown]
	v_pk_add_f32 v[48:49], v[78:79], v[66:67]
	v_pk_fma_f32 v[2:3], v[50:51], s[6:7], v[2:3] op_sel_hi:[1,0,1] neg_lo:[1,0,1] neg_hi:[1,0,1]
	v_pk_fma_f32 v[6:7], v[52:53], s[8:9], v[6:7] op_sel_hi:[1,0,1] neg_lo:[1,0,1] neg_hi:[1,0,1]
	v_pk_add_f32 v[2:3], v[2:3], v[64:65]
	v_pk_fma_f32 v[6:7], v[48:49], s[12:13], v[6:7] op_sel_hi:[1,0,1]
	v_pk_mul_f32 v[74:75], v[56:57], s[10:11]
	v_pk_mul_f32 v[56:57], v[94:95], s[20:21]
	;; [unrolled: 1-line block ×4, first 2 shown]
	v_pk_add_f32 v[66:67], v[2:3], v[6:7]
	v_pk_add_f32 v[2:3], v[2:3], v[6:7] neg_lo:[0,1] neg_hi:[0,1]
	v_pk_add_f32 v[72:73], v[14:15], v[84:85] neg_lo:[0,1] neg_hi:[0,1]
	v_pk_add_f32 v[46:47], v[54:55], v[86:87]
	v_pk_add_f32 v[54:55], v[10:11], v[86:87] neg_lo:[0,1] neg_hi:[0,1]
	s_waitcnt lgkmcnt(14)
	v_pk_add_f32 v[6:7], v[96:97], v[26:27]
	v_mov_b32_e32 v10, v78
	v_mov_b32_e32 v11, v75
	;; [unrolled: 1-line block ×4, first 2 shown]
	v_pk_fma_f32 v[26:27], v[96:97], s[18:19], v[6:7] op_sel_hi:[1,0,1] neg_lo:[1,0,0] neg_hi:[1,0,0]
	v_pk_fma_f32 v[10:11], v[72:73], s[6:7], v[10:11] op_sel_hi:[1,0,1] neg_lo:[1,0,1] neg_hi:[1,0,1]
	;; [unrolled: 1-line block ×3, first 2 shown]
	v_pk_add_f32 v[84:85], v[10:11], v[26:27]
	v_pk_fma_f32 v[14:15], v[46:47], s[12:13], v[14:15] op_sel_hi:[1,0,1]
	v_pk_add_f32 v[10:11], v[84:85], v[14:15]
	v_pk_add_f32 v[14:15], v[84:85], v[14:15] neg_lo:[0,1] neg_hi:[0,1]
	v_mov_b32_e32 v84, v66
	v_mov_b32_e32 v85, v3
	;; [unrolled: 1-line block ×4, first 2 shown]
	v_accvgpr_read_b32 v3, a207
	ds_write2_b64 v3, v[84:85], v[86:87] offset0:95 offset1:144
	v_accvgpr_read_b32 v84, a169
	v_mov_b32_e32 v85, v205
	s_waitcnt lgkmcnt(12)
	v_mov_b32_e32 v86, v91
	s_waitcnt lgkmcnt(11)
	v_mov_b32_e32 v87, v100
	v_pk_mul_f32 v[84:85], v[84:85], v[86:87]
	v_accvgpr_read_b32 v86, a168
	v_mov_b32_e32 v87, v204
	v_mov_b32_e32 v94, v90
	;; [unrolled: 1-line block ×3, first 2 shown]
	v_pk_fma_f32 v[96:97], v[86:87], v[94:95], v[84:85]
	v_pk_fma_f32 v[84:85], v[86:87], v[94:95], v[84:85] neg_lo:[0,0,1] neg_hi:[0,0,1]
	v_mov_b32_e32 v86, v206
	v_accvgpr_read_b32 v87, a141
	v_mov_b32_e32 v94, v16
	s_waitcnt lgkmcnt(10)
	v_mov_b32_e32 v95, v112
	v_accvgpr_read_b32 v108, a168
	v_pk_mul_f32 v[86:87], v[86:87], v[94:95]
	v_mov_b32_e32 v94, v207
	v_accvgpr_read_b32 v95, a140
	v_mov_b32_e32 v98, v17
	v_mov_b32_e32 v99, v113
	v_accvgpr_read_b32 v111, a171
	v_pk_fma_f32 v[104:105], v[94:95], v[98:99], v[86:87]
	v_pk_fma_f32 v[86:87], v[94:95], v[98:99], v[86:87] neg_lo:[0,0,1] neg_hi:[0,0,1]
	v_accvgpr_read_b32 v109, a169
	v_accvgpr_read_b32 v110, a170
	v_mul_f32_e32 v95, v111, v13
	v_mov_b32_e32 v99, v12
	v_mov_b32_e32 v106, v205
	;; [unrolled: 1-line block ×4, first 2 shown]
	v_fmac_f32_e32 v95, v110, v12
	v_pk_mul_f32 v[98:99], v[106:107], v[98:99]
	v_mov_b32_e32 v107, v110
	v_pk_mov_b32 v[132:133], v[108:109], v[108:109] op_sel:[0,1]
	v_accvgpr_read_b32 v108, a140
	v_mov_b32_e32 v106, v204
	v_mov_b32_e32 v12, v100
	v_accvgpr_read_b32 v111, a143
	v_pk_fma_f32 v[106:107], v[106:107], v[12:13], v[98:99] neg_lo:[0,0,1] neg_hi:[0,0,1]
	v_mov_b32_e32 v13, v206
	v_accvgpr_read_b32 v109, a141
	v_accvgpr_read_b32 v110, a142
	v_mov_b32_e32 v206, v111
	v_pk_fma_f32 v[98:99], v[204:205], v[100:101], v[98:99]
	v_mov_b32_e32 v100, v21
	v_mov_b32_e32 v101, v16
	v_pk_mul_f32 v[100:101], v[206:207], v[100:101]
	v_mov_b32_e32 v12, v110
	v_mul_f32_e32 v109, v109, v113
	v_mul_f32_e32 v3, v111, v20
	v_mov_b32_e32 v16, v20
	v_accvgpr_read_b32 v141, a139
	v_fmac_f32_e32 v109, v108, v112
	v_fma_f32 v110, v110, v21, -v3
	v_pk_fma_f32 v[112:113], v[12:13], v[16:17], v[100:101]
	v_pk_fma_f32 v[100:101], v[12:13], v[16:17], v[100:101] neg_lo:[0,0,1] neg_hi:[0,0,1]
	v_mul_f32_e32 v3, v133, v90
	v_mov_b32_e32 v12, v117
	v_accvgpr_read_b32 v140, a138
	v_accvgpr_read_b32 v139, a137
	v_mov_b32_e32 v13, v141
	v_mov_b32_e32 v16, v103
	s_waitcnt lgkmcnt(6)
	v_mov_b32_e32 v17, v128
	v_fma_f32 v90, v132, v91, -v3
	v_accvgpr_read_b32 v138, a136
	v_pk_mul_f32 v[12:13], v[12:13], v[16:17]
	v_mov_b32_e32 v16, v116
	v_mov_b32_e32 v17, v140
	;; [unrolled: 1-line block ×4, first 2 shown]
	v_mul_f32_e32 v3, v139, v92
	v_pk_fma_f32 v[132:133], v[16:17], v[20:21], v[12:13] neg_lo:[0,0,1] neg_hi:[0,0,1]
	v_mov_b32_e32 v16, v93
	v_fma_f32 v84, v138, v93, -v3
	v_mul_f32_e32 v93, v141, v129
	v_pk_fma_f32 v[136:137], v[116:117], v[102:103], v[12:13]
	v_mov_b32_e32 v13, v103
	v_mov_b32_e32 v17, v102
	v_fmac_f32_e32 v93, v140, v128
	v_mov_b32_e32 v20, v138
	v_mov_b32_e32 v102, v139
	;; [unrolled: 1-line block ×3, first 2 shown]
	v_accvgpr_read_b32 v138, a156
	v_mov_b32_e32 v12, v92
	v_pk_mul_f32 v[16:17], v[102:103], v[16:17]
	v_mov_b32_e32 v21, v116
	v_accvgpr_read_b32 v139, a157
	v_pk_fma_f32 v[102:103], v[20:21], v[12:13], v[16:17]
	v_pk_fma_f32 v[116:117], v[20:21], v[12:13], v[16:17] neg_lo:[0,0,1] neg_hi:[0,0,1]
	v_mov_b32_e32 v17, v114
	v_mov_b32_e32 v20, v118
	;; [unrolled: 1-line block ×4, first 2 shown]
	v_accvgpr_read_b32 v141, a159
	v_mul_f32_e32 v129, v139, v115
	v_mov_b32_e32 v13, v115
	v_pk_mul_f32 v[16:17], v[20:21], v[16:17]
	v_mov_b32_e32 v20, v119
	v_mov_b32_e32 v21, v138
	;; [unrolled: 1-line block ×3, first 2 shown]
	v_accvgpr_read_b32 v140, a158
	v_fmac_f32_e32 v129, v138, v114
	v_pk_fma_f32 v[114:115], v[20:21], v[12:13], v[16:17]
	v_pk_fma_f32 v[138:139], v[20:21], v[12:13], v[16:17] neg_lo:[0,0,1] neg_hi:[0,0,1]
	v_mov_b32_e32 v13, v118
	v_mov_b32_e32 v118, v141
	s_waitcnt lgkmcnt(5)
	v_mov_b32_e32 v16, v43
	v_mov_b32_e32 v17, v124
	v_pk_mul_f32 v[16:17], v[118:119], v[16:17]
	v_mov_b32_e32 v12, v140
	v_mov_b32_e32 v20, v42
	;; [unrolled: 1-line block ×3, first 2 shown]
	v_pk_fma_f32 v[118:119], v[12:13], v[20:21], v[16:17]
	v_pk_fma_f32 v[124:125], v[12:13], v[20:21], v[16:17] neg_lo:[0,0,1] neg_hi:[0,0,1]
	v_accvgpr_read_b32 v12, a161
	v_mov_b32_e32 v13, v201
	s_waitcnt lgkmcnt(4)
	v_mov_b32_e32 v16, v39
	s_waitcnt lgkmcnt(3)
	v_mov_b32_e32 v17, v34
	v_pk_mul_f32 v[12:13], v[12:13], v[16:17]
	v_accvgpr_read_b32 v16, a160
	v_mov_b32_e32 v17, v200
	v_mov_b32_e32 v20, v38
	;; [unrolled: 1-line block ×3, first 2 shown]
	v_pk_mov_b32 v[134:135], v[140:141], v[140:141] op_sel:[0,1]
	v_pk_fma_f32 v[140:141], v[16:17], v[20:21], v[12:13]
	v_pk_fma_f32 v[142:143], v[16:17], v[20:21], v[12:13] neg_lo:[0,0,1] neg_hi:[0,0,1]
	v_mov_b32_e32 v12, v202
	v_accvgpr_read_b32 v13, a145
	v_mov_b32_e32 v16, v126
	s_waitcnt lgkmcnt(2)
	v_mov_b32_e32 v17, v30
	v_accvgpr_read_b32 v150, a160
	v_accvgpr_read_b32 v156, a160
	v_pk_mul_f32 v[12:13], v[12:13], v[16:17]
	v_mov_b32_e32 v16, v203
	v_accvgpr_read_b32 v17, a144
	v_mov_b32_e32 v20, v127
	v_mov_b32_e32 v21, v31
	v_accvgpr_read_b32 v153, a163
	v_accvgpr_read_b32 v159, a163
	v_pk_fma_f32 v[144:145], v[16:17], v[20:21], v[12:13]
	v_pk_fma_f32 v[146:147], v[16:17], v[20:21], v[12:13] neg_lo:[0,0,1] neg_hi:[0,0,1]
	v_accvgpr_read_b32 v152, a162
	v_mul_f32_e32 v149, v153, v131
	v_accvgpr_read_b32 v158, a162
	v_mov_b32_e32 v17, v130
	v_mov_b32_e32 v20, v201
	;; [unrolled: 1-line block ×4, first 2 shown]
	v_accvgpr_read_b32 v151, a161
	v_fmac_f32_e32 v149, v152, v130
	v_mov_b32_e32 v13, v131
	v_pk_mul_f32 v[16:17], v[20:21], v[16:17]
	v_mov_b32_e32 v20, v200
	v_mov_b32_e32 v21, v158
	;; [unrolled: 1-line block ×3, first 2 shown]
	v_accvgpr_read_b32 v155, a147
	v_mul_f32_e32 v3, v135, v42
	v_accvgpr_read_b32 v157, a161
	v_pk_fma_f32 v[130:131], v[20:21], v[12:13], v[16:17] neg_lo:[0,0,1] neg_hi:[0,0,1]
	v_mov_b32_e32 v13, v202
	v_accvgpr_read_b32 v154, a146
	v_mov_b32_e32 v202, v155
	v_pk_fma_f32 v[150:151], v[200:201], v[34:35], v[16:17]
	v_mov_b32_e32 v16, v45
	v_mov_b32_e32 v17, v126
	v_fma_f32 v34, v134, v43, -v3
	v_mul_f32_e32 v3, v155, v44
	v_pk_mul_f32 v[16:17], v[202:203], v[16:17]
	v_mov_b32_e32 v12, v154
	v_fma_f32 v106, v154, v45, -v3
	v_mov_b32_e32 v20, v44
	v_mov_b32_e32 v21, v127
	v_mul_f32_e32 v3, v157, v38
	v_mul_f32_e32 v157, v211, v9
	v_pk_fma_f32 v[126:127], v[12:13], v[20:21], v[16:17]
	v_pk_fma_f32 v[154:155], v[12:13], v[20:21], v[16:17] neg_lo:[0,0,1] neg_hi:[0,0,1]
	v_fmac_f32_e32 v157, v210, v8
	v_mov_b32_e32 v13, v8
	v_mov_b32_e32 v17, v210
	;; [unrolled: 1-line block ×6, first 2 shown]
	v_pk_mul_f32 v[12:13], v[210:211], v[12:13]
	v_pk_fma_f32 v[158:159], v[16:17], v[8:9], v[12:13] neg_lo:[0,0,1] neg_hi:[0,0,1]
	v_pk_fma_f32 v[160:161], v[120:121], v[36:37], v[12:13]
	v_mov_b32_e32 v9, v120
	v_mov_b32_e32 v120, v209
	;; [unrolled: 1-line block ×7, first 2 shown]
	v_pk_mul_f32 v[16:17], v[120:121], v[16:17]
	v_mul_f32_e32 v167, v237, v33
	v_pk_fma_f32 v[162:163], v[8:9], v[12:13], v[16:17]
	v_pk_fma_f32 v[164:165], v[8:9], v[12:13], v[16:17] neg_lo:[0,0,1] neg_hi:[0,0,1]
	v_fmac_f32_e32 v167, v236, v32
	v_mov_b32_e32 v13, v32
	v_mov_b32_e32 v17, v236
	;; [unrolled: 1-line block ×4, first 2 shown]
	v_fma_f32 v116, v156, v39, -v3
	v_mul_f32_e32 v3, v209, v40
	v_mov_b32_e32 v9, v33
	v_mov_b32_e32 v16, v123
	;; [unrolled: 1-line block ×3, first 2 shown]
	v_pk_mul_f32 v[12:13], v[236:237], v[12:13]
	v_fma_f32 v124, v208, v41, -v3
	v_pk_fma_f32 v[168:169], v[16:17], v[8:9], v[12:13]
	v_pk_fma_f32 v[170:171], v[16:17], v[8:9], v[12:13] neg_lo:[0,0,1] neg_hi:[0,0,1]
	v_mov_b32_e32 v9, v122
	v_mov_b32_e32 v122, v239
	;; [unrolled: 1-line block ×4, first 2 shown]
	v_mul_f32_e32 v3, v239, v80
	v_pk_mul_f32 v[12:13], v[122:123], v[12:13]
	v_mov_b32_e32 v8, v238
	v_fma_f32 v122, v238, v81, -v3
	v_mov_b32_e32 v81, v5
	v_pk_fma_f32 v[172:173], v[8:9], v[80:81], v[12:13]
	v_pk_fma_f32 v[174:175], v[8:9], v[80:81], v[12:13] neg_lo:[0,0,1] neg_hi:[0,0,1]
	v_pk_fma_f32 v[4:5], v[62:63], s[16:17], v[60:61]
	v_pk_fma_f32 v[8:9], v[18:19], s[14:15], v[58:59]
	v_pk_add_f32 v[4:5], v[4:5], v[64:65]
	v_pk_fma_f32 v[8:9], v[48:49], s[12:13], v[8:9] op_sel_hi:[1,0,1]
	v_pk_add_f32 v[134:135], v[4:5], v[8:9]
	v_pk_add_f32 v[8:9], v[4:5], v[8:9] neg_lo:[0,1] neg_hi:[0,1]
	v_pk_fma_f32 v[4:5], v[88:89], s[16:17], v[74:75]
	v_pk_fma_f32 v[12:13], v[82:83], s[14:15], v[56:57]
	v_pk_add_f32 v[4:5], v[4:5], v[26:27]
	v_pk_fma_f32 v[16:17], v[46:47], s[12:13], v[12:13] op_sel_hi:[1,0,1]
	v_pk_add_f32 v[12:13], v[4:5], v[16:17]
	v_pk_add_f32 v[16:17], v[4:5], v[16:17] neg_lo:[0,1] neg_hi:[0,1]
	v_accvgpr_read_b32 v153, a145
	v_mov_b32_e32 v4, v134
	v_mov_b32_e32 v5, v9
	;; [unrolled: 1-line block ×8, first 2 shown]
	v_accvgpr_read_b32 v152, a144
	v_mul_f32_e32 v153, v153, v31
	ds_write2_b64 v187, v[4:5], v[18:19] offset0:136 offset1:185
	v_mov_b32_e32 v91, v96
	v_mov_b32_e32 v111, v112
	v_add_f32_e32 v21, v90, v110
	v_mov_b32_e32 v94, v107
	v_mov_b32_e32 v108, v87
	v_add_f32_e32 v32, v95, v109
	v_pk_add_f32 v[4:5], v[96:97], v[112:113]
	v_mov_b32_e32 v36, v101
	v_mov_b32_e32 v37, v104
	v_pk_add_f32 v[38:39], v[98:99], v[104:105]
	v_mov_b32_e32 v40, v85
	v_mov_b32_e32 v41, v98
	v_fmac_f32_e32 v153, v152, v30
	v_pk_add_f32 v[18:19], v[90:91], v[110:111] neg_lo:[0,1] neg_hi:[0,1]
	v_pk_add_f32 v[30:31], v[94:95], v[108:109] neg_lo:[0,1] neg_hi:[0,1]
	;; [unrolled: 1-line block ×3, first 2 shown]
	v_mov_b32_e32 v40, v38
	v_mov_b32_e32 v41, v21
	;; [unrolled: 1-line block ×6, first 2 shown]
	v_pk_add_f32 v[40:41], v[40:41], v[42:43] neg_lo:[0,1] neg_hi:[0,1]
	v_mov_b32_e32 v42, v36
	v_mov_b32_e32 v43, v19
	;; [unrolled: 1-line block ×4, first 2 shown]
	v_pk_add_f32 v[178:179], v[4:5], v[38:39] neg_lo:[0,1] neg_hi:[0,1]
	v_mov_b32_e32 v39, v5
	v_pk_add_f32 v[4:5], v[32:33], v[20:21]
	v_pk_add_f32 v[42:43], v[42:43], v[44:45] neg_lo:[0,1] neg_hi:[0,1]
	v_mov_b32_e32 v44, v18
	v_pk_add_f32 v[62:63], v[36:37], v[30:31]
	v_mov_b32_e32 v37, v31
	v_pk_add_f32 v[4:5], v[38:39], v[4:5]
	v_mov_b32_e32 v61, v69
	v_mov_b32_e32 v59, v71
	v_pk_add_f32 v[176:177], v[44:45], v[36:37] neg_lo:[0,1] neg_hi:[0,1]
	v_pk_add_f32 v[104:105], v[4:5], v[28:29]
	v_pk_add_f32 v[38:39], v[62:63], v[18:19]
	v_pk_mul_f32 v[82:83], v[40:41], s[10:11]
	v_pk_mul_f32 v[62:63], v[42:43], s[20:21]
	v_pk_fma_f32 v[50:51], v[50:51], s[6:7], v[60:61] op_sel_hi:[1,0,1] neg_lo:[0,0,1] neg_hi:[0,0,1]
	v_pk_fma_f32 v[52:53], v[52:53], s[8:9], v[58:59] op_sel_hi:[1,0,1] neg_lo:[0,0,1] neg_hi:[0,0,1]
	;; [unrolled: 1-line block ×3, first 2 shown]
	v_pk_fma_f32 v[4:5], v[178:179], s[16:17], v[82:83]
	v_pk_fma_f32 v[28:29], v[176:177], s[14:15], v[62:63]
	v_pk_add_f32 v[50:51], v[50:51], v[64:65]
	v_pk_fma_f32 v[48:49], v[48:49], s[12:13], v[52:53] op_sel_hi:[1,0,1]
	v_pk_add_f32 v[4:5], v[4:5], v[42:43]
	v_pk_fma_f32 v[36:37], v[38:39], s[12:13], v[28:29] op_sel_hi:[1,0,1]
	v_mov_b32_e32 v85, v102
	v_mov_b32_e32 v35, v118
	v_mov_b32_e32 v137, v133
	v_mov_b32_e32 v115, v139
	v_mov_b32_e32 v103, v117
	v_mov_b32_e32 v119, v125
	v_pk_add_f32 v[52:53], v[50:51], v[48:49] neg_lo:[0,1] neg_hi:[0,1]
	v_pk_add_f32 v[50:51], v[50:51], v[48:49]
	v_mov_b32_e32 v75, v79
	v_mov_b32_e32 v57, v77
	v_pk_add_f32 v[28:29], v[4:5], v[36:37]
	v_pk_add_f32 v[4:5], v[4:5], v[36:37] neg_lo:[0,1] neg_hi:[0,1]
	v_add_f32_e32 v37, v84, v34
	v_pk_add_f32 v[34:35], v[84:85], v[34:35] neg_lo:[0,1] neg_hi:[0,1]
	v_mov_b32_e32 v92, v133
	v_mov_b32_e32 v128, v139
	v_add_f32_e32 v80, v93, v129
	v_pk_add_f32 v[40:41], v[102:103], v[118:119]
	v_mov_b32_e32 v84, v125
	v_mov_b32_e32 v85, v114
	v_pk_add_f32 v[86:87], v[136:137], v[114:115]
	v_mov_b32_e32 v88, v117
	v_mov_b32_e32 v89, v136
	;; [unrolled: 1-line block ×5, first 2 shown]
	v_pk_fma_f32 v[52:53], v[72:73], s[6:7], v[74:75] op_sel_hi:[1,0,1] neg_lo:[0,0,1] neg_hi:[0,0,1]
	v_pk_fma_f32 v[54:55], v[54:55], s[8:9], v[56:57] op_sel_hi:[1,0,1] neg_lo:[0,0,1] neg_hi:[0,0,1]
	v_pk_add_f32 v[44:45], v[92:93], v[128:129] neg_lo:[0,1] neg_hi:[0,1]
	v_pk_add_f32 v[84:85], v[84:85], v[88:89] neg_lo:[0,1] neg_hi:[0,1]
	v_mov_b32_e32 v88, v86
	v_mov_b32_e32 v89, v37
	;; [unrolled: 1-line block ×4, first 2 shown]
	v_pk_add_f32 v[26:27], v[52:53], v[26:27]
	v_pk_fma_f32 v[46:47], v[46:47], s[12:13], v[54:55] op_sel_hi:[1,0,1]
	v_pk_add_f32 v[88:89], v[88:89], v[90:91] neg_lo:[0,1] neg_hi:[0,1]
	v_mov_b32_e32 v90, v84
	v_mov_b32_e32 v91, v35
	;; [unrolled: 1-line block ×6, first 2 shown]
	v_pk_add_f32 v[52:53], v[26:27], v[46:47] neg_lo:[0,1] neg_hi:[0,1]
	v_pk_add_f32 v[26:27], v[26:27], v[46:47]
	v_pk_add_f32 v[90:91], v[90:91], v[92:93] neg_lo:[0,1] neg_hi:[0,1]
	v_mov_b32_e32 v92, v34
	v_pk_add_f32 v[94:95], v[84:85], v[44:45]
	v_mov_b32_e32 v85, v45
	v_pk_add_f32 v[180:181], v[40:41], v[86:87] neg_lo:[0,1] neg_hi:[0,1]
	v_mov_b32_e32 v87, v41
	v_pk_add_f32 v[40:41], v[80:81], v[36:37]
	v_mov_b32_e32 v47, v27
	v_mov_b32_e32 v27, v53
	v_pk_add_f32 v[138:139], v[92:93], v[84:85] neg_lo:[0,1] neg_hi:[0,1]
	v_pk_add_f32 v[84:85], v[86:87], v[40:41]
	v_mov_b32_e32 v3, v67
	v_mov_b32_e32 v9, v135
	v_pk_mul_f32 v[60:61], v[178:179], s[16:17]
	v_pk_mul_f32 v[64:65], v[176:177], s[14:15]
	v_mov_b32_e32 v46, v52
	v_accvgpr_read_b32 v52, a101
	ds_write2_b64 v221, v[50:51], v[26:27] offset0:141 offset1:190
	v_mov_b32_e32 v15, v11
	v_accvgpr_read_b32 v26, a206
	v_mov_b32_e32 v17, v13
	v_pk_mul_f32 v[102:103], v[88:89], s[10:11]
	v_pk_mul_f32 v[98:99], v[90:91], s[20:21]
	v_pk_add_f32 v[40:41], v[84:85], v[22:23]
	ds_write2_b64 v52, v[58:59], v[46:47] offset0:54 offset1:103
	ds_write2_b64 v26, v[2:3], v[14:15] offset0:100 offset1:149
	;; [unrolled: 1-line block ×4, first 2 shown]
	v_pk_add_f32 v[6:7], v[32:33], v[20:21] neg_lo:[0,1] neg_hi:[0,1]
	v_pk_add_f32 v[8:9], v[30:31], v[18:19] neg_lo:[0,1] neg_hi:[0,1]
	v_mov_b32_e32 v10, v60
	v_mov_b32_e32 v11, v83
	;; [unrolled: 1-line block ×4, first 2 shown]
	v_pk_add_f32 v[92:93], v[94:95], v[34:35]
	v_pk_fma_f32 v[100:101], v[84:85], s[18:19], v[40:41] op_sel_hi:[1,0,1] neg_lo:[1,0,0] neg_hi:[1,0,0]
	v_pk_fma_f32 v[22:23], v[180:181], s[16:17], v[102:103]
	v_pk_fma_f32 v[84:85], v[138:139], s[14:15], v[98:99]
	v_pk_fma_f32 v[10:11], v[6:7], s[6:7], v[10:11] op_sel_hi:[1,0,1] neg_lo:[1,0,1] neg_hi:[1,0,1]
	v_pk_fma_f32 v[12:13], v[8:9], s[8:9], v[12:13] op_sel_hi:[1,0,1] neg_lo:[1,0,1] neg_hi:[1,0,1]
	v_mov_b32_e32 v83, v61
	v_mov_b32_e32 v63, v65
	v_pk_add_f32 v[22:23], v[22:23], v[100:101]
	v_pk_fma_f32 v[84:85], v[92:93], s[12:13], v[84:85] op_sel_hi:[1,0,1]
	v_mov_b32_e32 v117, v140
	v_mov_b32_e32 v107, v126
	;; [unrolled: 1-line block ×6, first 2 shown]
	v_pk_add_f32 v[10:11], v[10:11], v[42:43]
	v_pk_fma_f32 v[12:13], v[38:39], s[12:13], v[12:13] op_sel_hi:[1,0,1]
	v_pk_fma_f32 v[6:7], v[6:7], s[6:7], v[82:83] op_sel_hi:[1,0,1] neg_lo:[0,0,1] neg_hi:[0,0,1]
	v_pk_fma_f32 v[8:9], v[8:9], s[8:9], v[62:63] op_sel_hi:[1,0,1] neg_lo:[0,0,1] neg_hi:[0,0,1]
	v_pk_add_f32 v[88:89], v[22:23], v[84:85]
	v_pk_add_f32 v[90:91], v[22:23], v[84:85] neg_lo:[0,1] neg_hi:[0,1]
	v_add_f32_e32 v87, v116, v106
	v_pk_add_f32 v[84:85], v[116:117], v[106:107] neg_lo:[0,1] neg_hi:[0,1]
	v_mov_b32_e32 v148, v131
	v_mov_b32_e32 v152, v147
	v_add_f32_e32 v96, v149, v153
	v_pk_add_f32 v[22:23], v[140:141], v[126:127]
	v_mov_b32_e32 v106, v155
	v_mov_b32_e32 v107, v144
	v_pk_add_f32 v[108:109], v[150:151], v[144:145]
	v_mov_b32_e32 v110, v143
	v_mov_b32_e32 v111, v150
	v_pk_add_f32 v[14:15], v[10:11], v[12:13]
	v_pk_add_f32 v[10:11], v[10:11], v[12:13] neg_lo:[0,1] neg_hi:[0,1]
	v_pk_add_f32 v[6:7], v[6:7], v[42:43]
	v_pk_fma_f32 v[8:9], v[38:39], s[12:13], v[8:9] op_sel_hi:[1,0,1]
	v_pk_add_f32 v[94:95], v[148:149], v[152:153] neg_lo:[0,1] neg_hi:[0,1]
	v_pk_add_f32 v[106:107], v[106:107], v[110:111] neg_lo:[0,1] neg_hi:[0,1]
	v_mov_b32_e32 v110, v108
	v_mov_b32_e32 v111, v87
	;; [unrolled: 1-line block ×6, first 2 shown]
	v_pk_mul_f32 v[66:67], v[180:181], s[16:17]
	v_pk_mul_f32 v[68:69], v[138:139], s[14:15]
	v_mov_b32_e32 v2, v28
	v_mov_b32_e32 v3, v5
	;; [unrolled: 1-line block ×4, first 2 shown]
	v_pk_add_f32 v[16:17], v[6:7], v[8:9] neg_lo:[0,1] neg_hi:[0,1]
	v_pk_add_f32 v[6:7], v[6:7], v[8:9]
	v_mov_b32_e32 v11, v15
	v_mov_b32_e32 v14, v88
	;; [unrolled: 1-line block ×3, first 2 shown]
	v_pk_add_f32 v[112:113], v[110:111], v[112:113] neg_lo:[0,1] neg_hi:[0,1]
	v_mov_b32_e32 v110, v106
	v_mov_b32_e32 v111, v85
	;; [unrolled: 1-line block ×4, first 2 shown]
	v_pk_add_f32 v[142:143], v[22:23], v[108:109] neg_lo:[0,1] neg_hi:[0,1]
	v_mov_b32_e32 v109, v23
	v_pk_add_f32 v[22:23], v[96:97], v[86:87]
	v_mov_b32_e32 v8, v16
	v_mov_b32_e32 v9, v7
	;; [unrolled: 1-line block ×3, first 2 shown]
	ds_write2_b64 v183, v[2:3], v[14:15] offset0:106 offset1:155
	v_pk_add_f32 v[2:3], v[80:81], v[36:37] neg_lo:[0,1] neg_hi:[0,1]
	v_pk_add_f32 v[14:15], v[44:45], v[34:35] neg_lo:[0,1] neg_hi:[0,1]
	v_mov_b32_e32 v16, v66
	v_mov_b32_e32 v17, v103
	;; [unrolled: 1-line block ×4, first 2 shown]
	v_pk_add_f32 v[114:115], v[110:111], v[114:115] neg_lo:[0,1] neg_hi:[0,1]
	v_mov_b32_e32 v110, v84
	v_mov_b32_e32 v111, v107
	v_pk_add_f32 v[116:117], v[106:107], v[94:95]
	v_mov_b32_e32 v107, v95
	v_pk_add_f32 v[22:23], v[108:109], v[22:23]
	v_pk_fma_f32 v[16:17], v[2:3], s[6:7], v[16:17] op_sel_hi:[1,0,1] neg_lo:[1,0,1] neg_hi:[1,0,1]
	v_pk_fma_f32 v[18:19], v[14:15], s[8:9], v[18:19] op_sel_hi:[1,0,1] neg_lo:[1,0,1] neg_hi:[1,0,1]
	v_pk_add_f32 v[140:141], v[110:111], v[106:107] neg_lo:[0,1] neg_hi:[0,1]
	v_pk_add_f32 v[132:133], v[22:23], v[24:25]
	v_pk_mul_f32 v[120:121], v[112:113], s[10:11]
	v_pk_mul_f32 v[118:119], v[114:115], s[20:21]
	v_pk_add_f32 v[16:17], v[16:17], v[100:101]
	v_pk_fma_f32 v[18:19], v[92:93], s[12:13], v[18:19] op_sel_hi:[1,0,1]
	v_pk_add_f32 v[110:111], v[116:117], v[84:85]
	v_pk_fma_f32 v[116:117], v[22:23], s[18:19], v[132:133] op_sel_hi:[1,0,1] neg_lo:[1,0,0] neg_hi:[1,0,0]
	v_pk_fma_f32 v[22:23], v[142:143], s[16:17], v[120:121]
	v_pk_fma_f32 v[24:25], v[140:141], s[14:15], v[118:119]
	v_pk_add_f32 v[20:21], v[16:17], v[18:19]
	v_pk_add_f32 v[16:17], v[16:17], v[18:19] neg_lo:[0,1] neg_hi:[0,1]
	v_pk_add_f32 v[22:23], v[22:23], v[116:117]
	v_pk_fma_f32 v[24:25], v[110:111], s[12:13], v[24:25] op_sel_hi:[1,0,1]
	v_mov_b32_e32 v125, v162
	v_mov_b32_e32 v123, v172
	v_mov_b32_e32 v161, v159
	v_mov_b32_e32 v169, v171
	v_mov_b32_e32 v163, v165
	v_mov_b32_e32 v173, v175
	v_mov_b32_e32 v18, v20
	v_mov_b32_e32 v19, v17
	v_accvgpr_read_b32 v20, a254
	v_mov_b32_e32 v103, v67
	v_mov_b32_e32 v99, v69
	v_pk_add_f32 v[108:109], v[22:23], v[24:25]
	v_pk_add_f32 v[22:23], v[22:23], v[24:25] neg_lo:[0,1] neg_hi:[0,1]
	v_add_f32_e32 v107, v124, v122
	v_pk_add_f32 v[24:25], v[124:125], v[122:123] neg_lo:[0,1] neg_hi:[0,1]
	v_mov_b32_e32 v156, v159
	v_mov_b32_e32 v166, v171
	v_add_f32_e32 v114, v157, v167
	v_pk_add_f32 v[122:123], v[162:163], v[172:173]
	v_mov_b32_e32 v124, v175
	v_mov_b32_e32 v125, v168
	v_pk_add_f32 v[126:127], v[160:161], v[168:169]
	v_mov_b32_e32 v128, v165
	v_mov_b32_e32 v129, v160
	ds_write2_b64 v20, v[12:13], v[18:19] offset0:65 offset1:114
	v_pk_fma_f32 v[2:3], v[2:3], s[6:7], v[102:103] op_sel_hi:[1,0,1] neg_lo:[0,0,1] neg_hi:[0,0,1]
	v_pk_fma_f32 v[12:13], v[14:15], s[8:9], v[98:99] op_sel_hi:[1,0,1] neg_lo:[0,0,1] neg_hi:[0,0,1]
	v_pk_add_f32 v[112:113], v[156:157], v[166:167] neg_lo:[0,1] neg_hi:[0,1]
	v_pk_add_f32 v[124:125], v[124:125], v[128:129] neg_lo:[0,1] neg_hi:[0,1]
	v_mov_b32_e32 v128, v126
	v_mov_b32_e32 v129, v107
	;; [unrolled: 1-line block ×6, first 2 shown]
	v_pk_add_f32 v[2:3], v[2:3], v[100:101]
	v_pk_fma_f32 v[12:13], v[92:93], s[12:13], v[12:13] op_sel_hi:[1,0,1]
	v_pk_add_f32 v[128:129], v[128:129], v[130:131] neg_lo:[0,1] neg_hi:[0,1]
	v_mov_b32_e32 v130, v124
	v_mov_b32_e32 v131, v25
	;; [unrolled: 1-line block ×4, first 2 shown]
	v_pk_add_f32 v[150:151], v[122:123], v[126:127] neg_lo:[0,1] neg_hi:[0,1]
	v_mov_b32_e32 v127, v123
	v_pk_add_f32 v[122:123], v[114:115], v[106:107]
	v_pk_add_f32 v[14:15], v[2:3], v[12:13] neg_lo:[0,1] neg_hi:[0,1]
	v_pk_add_f32 v[2:3], v[2:3], v[12:13]
	v_pk_add_f32 v[144:145], v[130:131], v[136:137] neg_lo:[0,1] neg_hi:[0,1]
	v_mov_b32_e32 v130, v24
	v_mov_b32_e32 v131, v125
	v_pk_add_f32 v[146:147], v[124:125], v[112:113]
	v_mov_b32_e32 v125, v113
	v_pk_add_f32 v[122:123], v[126:127], v[122:123]
	v_mov_b32_e32 v12, v14
	v_mov_b32_e32 v13, v3
	v_pk_add_f32 v[148:149], v[130:131], v[124:125] neg_lo:[0,1] neg_hi:[0,1]
	v_pk_add_f32 v[136:137], v[122:123], v[0:1]
	v_pk_mul_f32 v[130:131], v[128:129], s[10:11]
	v_pk_mul_f32 v[70:71], v[142:143], s[16:17]
	;; [unrolled: 1-line block ×3, first 2 shown]
	v_mov_b32_e32 v5, v29
	ds_write2_b64 v52, v[8:9], v[12:13] offset0:152 offset1:201
	v_mov_b32_e32 v3, v15
	v_accvgpr_read_b32 v8, a100
	v_mov_b32_e32 v17, v21
	v_mov_b32_e32 v91, v89
	v_pk_mul_f32 v[128:129], v[144:145], s[20:21]
	v_pk_fma_f32 v[126:127], v[122:123], s[18:19], v[136:137] op_sel_hi:[1,0,1] neg_lo:[1,0,0] neg_hi:[1,0,0]
	v_pk_fma_f32 v[0:1], v[150:151], s[16:17], v[130:131]
	ds_write2_b64 v8, v[6:7], v[2:3] offset0:111 offset1:160
	ds_write2_b64 v184, v[10:11], v[16:17] offset0:70 offset1:119
	ds_write2_b64 v194, v[4:5], v[90:91] offset0:157 offset1:206
	ds_write2_b64 v193, v[40:41], v[132:133] offset0:196 offset1:245
	v_pk_add_f32 v[4:5], v[96:97], v[86:87] neg_lo:[0,1] neg_hi:[0,1]
	v_pk_add_f32 v[6:7], v[94:95], v[84:85] neg_lo:[0,1] neg_hi:[0,1]
	v_mov_b32_e32 v8, v70
	v_mov_b32_e32 v9, v121
	;; [unrolled: 1-line block ×4, first 2 shown]
	v_pk_add_f32 v[124:125], v[146:147], v[24:25]
	v_pk_add_f32 v[122:123], v[0:1], v[126:127]
	v_pk_fma_f32 v[0:1], v[148:149], s[14:15], v[128:129]
	v_pk_fma_f32 v[8:9], v[4:5], s[6:7], v[8:9] op_sel_hi:[1,0,1] neg_lo:[1,0,1] neg_hi:[1,0,1]
	v_pk_fma_f32 v[10:11], v[6:7], s[8:9], v[10:11] op_sel_hi:[1,0,1] neg_lo:[1,0,1] neg_hi:[1,0,1]
	v_mov_b32_e32 v121, v71
	v_mov_b32_e32 v119, v73
	v_pk_fma_f32 v[144:145], v[124:125], s[12:13], v[0:1] op_sel_hi:[1,0,1]
	v_pk_add_f32 v[8:9], v[8:9], v[116:117]
	v_pk_fma_f32 v[10:11], v[110:111], s[12:13], v[10:11] op_sel_hi:[1,0,1]
	v_pk_fma_f32 v[4:5], v[4:5], s[6:7], v[120:121] op_sel_hi:[1,0,1] neg_lo:[0,0,1] neg_hi:[0,0,1]
	v_pk_fma_f32 v[6:7], v[6:7], s[8:9], v[118:119] op_sel_hi:[1,0,1] neg_lo:[0,0,1] neg_hi:[0,0,1]
	v_pk_add_f32 v[0:1], v[122:123], v[144:145]
	v_pk_add_f32 v[122:123], v[122:123], v[144:145] neg_lo:[0,1] neg_hi:[0,1]
	v_pk_add_f32 v[12:13], v[8:9], v[10:11]
	v_pk_add_f32 v[8:9], v[8:9], v[10:11] neg_lo:[0,1] neg_hi:[0,1]
	v_pk_add_f32 v[4:5], v[4:5], v[116:117]
	v_pk_fma_f32 v[6:7], v[110:111], s[12:13], v[6:7] op_sel_hi:[1,0,1]
	v_pk_mul_f32 v[74:75], v[150:151], s[16:17]
	v_pk_mul_f32 v[76:77], v[148:149], s[14:15]
	v_mov_b32_e32 v2, v108
	v_mov_b32_e32 v3, v23
	;; [unrolled: 1-line block ×4, first 2 shown]
	v_pk_add_f32 v[14:15], v[4:5], v[6:7] neg_lo:[0,1] neg_hi:[0,1]
	v_pk_add_f32 v[4:5], v[4:5], v[6:7]
	v_mov_b32_e32 v9, v13
	v_mov_b32_e32 v12, v0
	;; [unrolled: 1-line block ×6, first 2 shown]
	ds_write2_b64 v185, v[2:3], v[12:13] offset0:76 offset1:125
	v_pk_add_f32 v[2:3], v[114:115], v[106:107] neg_lo:[0,1] neg_hi:[0,1]
	v_pk_add_f32 v[12:13], v[112:113], v[24:25] neg_lo:[0,1] neg_hi:[0,1]
	v_mov_b32_e32 v14, v74
	v_mov_b32_e32 v15, v131
	;; [unrolled: 1-line block ×4, first 2 shown]
	v_pk_fma_f32 v[14:15], v[2:3], s[6:7], v[14:15] op_sel_hi:[1,0,1] neg_lo:[1,0,1] neg_hi:[1,0,1]
	v_pk_fma_f32 v[16:17], v[12:13], s[8:9], v[16:17] op_sel_hi:[1,0,1] neg_lo:[1,0,1] neg_hi:[1,0,1]
	v_pk_add_f32 v[14:15], v[14:15], v[126:127]
	v_pk_fma_f32 v[16:17], v[124:125], s[12:13], v[16:17] op_sel_hi:[1,0,1]
	v_pk_add_f32 v[18:19], v[14:15], v[16:17]
	v_pk_add_f32 v[14:15], v[14:15], v[16:17] neg_lo:[0,1] neg_hi:[0,1]
	v_mov_b32_e32 v16, v18
	v_mov_b32_e32 v17, v15
	;; [unrolled: 1-line block ×4, first 2 shown]
	ds_write2_b64 v20, v[10:11], v[16:17] offset0:163 offset1:212
	v_pk_fma_f32 v[2:3], v[2:3], s[6:7], v[130:131] op_sel_hi:[1,0,1] neg_lo:[0,0,1] neg_hi:[0,0,1]
	v_pk_fma_f32 v[10:11], v[12:13], s[8:9], v[128:129] op_sel_hi:[1,0,1] neg_lo:[0,0,1] neg_hi:[0,0,1]
	v_pk_add_f32 v[2:3], v[2:3], v[126:127]
	v_pk_fma_f32 v[10:11], v[124:125], s[12:13], v[10:11] op_sel_hi:[1,0,1]
	v_pk_add_f32 v[12:13], v[2:3], v[10:11] neg_lo:[0,1] neg_hi:[0,1]
	v_pk_add_f32 v[2:3], v[2:3], v[10:11]
	v_mov_b32_e32 v23, v109
	v_mov_b32_e32 v10, v12
	;; [unrolled: 1-line block ×4, first 2 shown]
	v_accvgpr_read_b32 v20, a255
	v_mov_b32_e32 v15, v19
	v_mov_b32_e32 v123, v1
	v_accvgpr_read_b32 v0, a2
	ds_write_b64 v193, v[136:137] offset:2352
	ds_write2_b64 v182, v[6:7], v[10:11] offset0:122 offset1:171
	ds_write2_b64 v20, v[4:5], v[2:3] offset0:81 offset1:130
	;; [unrolled: 1-line block ×4, first 2 shown]
	s_waitcnt lgkmcnt(0)
	; wave barrier
	s_waitcnt lgkmcnt(0)
	ds_read2_b64 v[6:9], v193 offset1:49
	v_accvgpr_read_b32 v78, a4
	v_mad_u64_u32 v[48:49], s[10:11], s2, v78, 0
	v_mov_b32_e32 v0, v49
	v_accvgpr_read_b32 v2, a86
	v_mad_u64_u32 v[0:1], s[2:3], s3, v78, v[0:1]
	v_accvgpr_read_b32 v3, a87
	v_mov_b32_e32 v49, v0
	s_waitcnt lgkmcnt(0)
	v_mul_f32_e32 v0, v3, v7
	v_fmac_f32_e32 v0, v2, v6
	s_mov_b32 s2, 0x5cf97efd
	v_cvt_f64_f32_e32 v[0:1], v0
	s_mov_b32 s3, 0x3f3b4b98
	v_mul_f64 v[0:1], v[0:1], s[2:3]
	v_cvt_f32_f64_e32 v4, v[0:1]
	v_mul_f32_e32 v0, v3, v6
	buffer_load_dword v3, off, s[24:27], 0 offset:4 ; 4-byte Folded Reload
	v_fma_f32 v0, v2, v7, -v0
	v_cvt_f64_f32_e32 v[0:1], v0
	v_mul_f64 v[0:1], v[0:1], s[2:3]
	v_cvt_f32_f64_e32 v5, v[0:1]
	v_mov_b32_e32 v6, s5
	v_accvgpr_read_b32 v186, a240
	v_mov_b32_e32 v22, 0xffffc138
	v_accvgpr_read_b32 v27, a101
	v_accvgpr_read_b32 v25, a254
	;; [unrolled: 1-line block ×4, first 2 shown]
	s_waitcnt vmcnt(0)
	v_mad_u64_u32 v[0:1], s[6:7], s0, v3, 0
	v_mov_b32_e32 v2, v1
	v_mad_u64_u32 v[2:3], s[6:7], s1, v3, v[2:3]
	v_mov_b32_e32 v1, v2
	v_lshlrev_b64 v[2:3], 3, v[48:49]
	v_add_co_u32_e32 v10, vcc, s4, v2
	v_addc_co_u32_e32 v11, vcc, v6, v3, vcc
	v_lshlrev_b64 v[6:7], 3, v[0:1]
	ds_read2_b64 v[0:3], v187 offset0:38 offset1:87
	v_add_co_u32_e32 v6, vcc, v10, v6
	v_addc_co_u32_e32 v7, vcc, v11, v7, vcc
	v_accvgpr_read_b32 v10, a80
	v_accvgpr_read_b32 v11, a81
	global_store_dwordx2 v[6:7], v[4:5], off
	s_waitcnt lgkmcnt(0)
	v_mul_f32_e32 v4, v11, v3
	v_fmac_f32_e32 v4, v10, v2
	v_mul_f32_e32 v2, v11, v2
	v_fma_f32 v2, v10, v3, -v2
	v_cvt_f64_f32_e32 v[4:5], v4
	v_cvt_f64_f32_e32 v[2:3], v2
	ds_read2_b64 v[10:13], v185 offset0:174 offset1:223
	v_mad_u64_u32 v[6:7], s[4:5], s0, v192, v[6:7]
	v_mul_f64 v[4:5], v[4:5], s[2:3]
	v_mul_f64 v[2:3], v[2:3], s[2:3]
	s_mul_i32 s4, s1, 0xab8
	v_cvt_f32_f64_e32 v4, v[4:5]
	v_cvt_f32_f64_e32 v5, v[2:3]
	v_add_u32_e32 v7, s4, v7
	global_store_dwordx2 v[6:7], v[4:5], off
	v_accvgpr_read_b32 v4, a92
	v_accvgpr_read_b32 v5, a93
	s_waitcnt lgkmcnt(0)
	v_mul_f32_e32 v2, v5, v11
	v_fmac_f32_e32 v2, v4, v10
	v_cvt_f64_f32_e32 v[2:3], v2
	v_mul_f64 v[2:3], v[2:3], s[2:3]
	v_cvt_f32_f64_e32 v14, v[2:3]
	v_mul_f32_e32 v2, v5, v10
	v_fma_f32 v2, v4, v11, -v2
	v_cvt_f64_f32_e32 v[2:3], v2
	v_mul_f64 v[2:3], v[2:3], s[2:3]
	v_cvt_f32_f64_e32 v15, v[2:3]
	ds_read2_b64 v[2:5], v186 offset0:84 offset1:133
	v_mad_u64_u32 v[6:7], s[6:7], s0, v192, v[6:7]
	v_add_u32_e32 v7, s4, v7
	global_store_dwordx2 v[6:7], v[14:15], off
	v_accvgpr_read_b32 v14, a96
	v_accvgpr_read_b32 v15, a97
	s_waitcnt lgkmcnt(0)
	v_mul_f32_e32 v10, v15, v5
	v_fmac_f32_e32 v10, v14, v4
	v_mul_f32_e32 v4, v15, v4
	v_fma_f32 v4, v14, v5, -v4
	ds_read2_b64 v[14:17], v221 offset0:92 offset1:141
	v_cvt_f64_f32_e32 v[10:11], v10
	v_cvt_f64_f32_e32 v[4:5], v4
	v_mad_u64_u32 v[18:19], s[6:7], s0, v192, v[6:7]
	v_accvgpr_read_b32 v6, a88
	v_mul_f64 v[10:11], v[10:11], s[2:3]
	v_mul_f64 v[4:5], v[4:5], s[2:3]
	v_accvgpr_read_b32 v7, a89
	v_cvt_f32_f64_e32 v10, v[10:11]
	v_cvt_f32_f64_e32 v11, v[4:5]
	s_waitcnt lgkmcnt(0)
	v_mul_f32_e32 v4, v7, v15
	v_fmac_f32_e32 v4, v6, v14
	v_cvt_f64_f32_e32 v[4:5], v4
	v_add_u32_e32 v19, s4, v19
	v_mul_f64 v[4:5], v[4:5], s[2:3]
	global_store_dwordx2 v[18:19], v[10:11], off
	v_cvt_f32_f64_e32 v10, v[4:5]
	v_mul_f32_e32 v4, v7, v14
	v_fma_f32 v4, v6, v15, -v4
	v_cvt_f64_f32_e32 v[4:5], v4
	v_mul_f64 v[4:5], v[4:5], s[2:3]
	v_cvt_f32_f64_e32 v11, v[4:5]
	ds_read2_b64 v[4:7], v20 offset0:130 offset1:179
	v_mad_u64_u32 v[14:15], s[6:7], s0, v192, v[18:19]
	v_accvgpr_read_b32 v18, a98
	v_add_u32_e32 v15, s4, v15
	v_accvgpr_read_b32 v19, a99
	global_store_dwordx2 v[14:15], v[10:11], off
	s_waitcnt lgkmcnt(0)
	v_mul_f32_e32 v10, v19, v7
	v_fmac_f32_e32 v10, v18, v6
	v_mul_f32_e32 v6, v19, v6
	v_fma_f32 v6, v18, v7, -v6
	ds_read2_b64 v[18:21], v194 offset0:10 offset1:59
	v_cvt_f64_f32_e32 v[10:11], v10
	v_cvt_f64_f32_e32 v[6:7], v6
	v_mul_f64 v[10:11], v[10:11], s[2:3]
	v_mul_f64 v[6:7], v[6:7], s[2:3]
	v_cvt_f32_f64_e32 v10, v[10:11]
	v_cvt_f32_f64_e32 v11, v[6:7]
	v_mad_u64_u32 v[6:7], s[6:7], s0, v192, v[14:15]
	v_accvgpr_read_b32 v14, a94
	v_add_u32_e32 v7, s4, v7
	v_accvgpr_read_b32 v15, a95
	global_store_dwordx2 v[6:7], v[10:11], off
	s_waitcnt lgkmcnt(0)
	v_mul_f32_e32 v10, v15, v19
	v_fmac_f32_e32 v10, v14, v18
	v_cvt_f64_f32_e32 v[10:11], v10
	v_mul_f64 v[10:11], v[10:11], s[2:3]
	v_cvt_f32_f64_e32 v10, v[10:11]
	v_mul_f32_e32 v11, v15, v18
	v_fma_f32 v11, v14, v19, -v11
	v_cvt_f64_f32_e32 v[14:15], v11
	v_mul_f64 v[14:15], v[14:15], s[2:3]
	v_cvt_f32_f64_e32 v11, v[14:15]
	v_mad_u64_u32 v[6:7], s[6:7], s0, v192, v[6:7]
	v_accvgpr_read_b32 v14, a90
	v_add_u32_e32 v7, s4, v7
	v_accvgpr_read_b32 v15, a91
	global_store_dwordx2 v[6:7], v[10:11], off
	v_mul_f32_e32 v10, v15, v9
	v_fmac_f32_e32 v10, v14, v8
	v_mul_f32_e32 v8, v15, v8
	v_fma_f32 v8, v14, v9, -v8
	v_cvt_f64_f32_e32 v[10:11], v10
	v_cvt_f64_f32_e32 v[8:9], v8
	v_mul_f64 v[10:11], v[10:11], s[2:3]
	v_mul_f64 v[8:9], v[8:9], s[2:3]
	v_cvt_f32_f64_e32 v10, v[10:11]
	v_cvt_f32_f64_e32 v11, v[8:9]
	v_mad_u64_u32 v[14:15], s[6:7], s0, v22, v[6:7]
	ds_read2_b64 v[6:9], v187 offset0:136 offset1:185
	s_mulk_i32 s1, 0xc138
	s_sub_i32 s1, s1, s0
	v_accvgpr_read_b32 v18, a84
	v_add_u32_e32 v15, s1, v15
	v_accvgpr_read_b32 v19, a85
	global_store_dwordx2 v[14:15], v[10:11], off
	s_waitcnt lgkmcnt(0)
	v_mul_f32_e32 v10, v19, v7
	v_fmac_f32_e32 v10, v18, v6
	v_mul_f32_e32 v6, v19, v6
	v_fma_f32 v6, v18, v7, -v6
	v_cvt_f64_f32_e32 v[10:11], v10
	v_cvt_f64_f32_e32 v[6:7], v6
	v_mul_f64 v[10:11], v[10:11], s[2:3]
	v_mul_f64 v[6:7], v[6:7], s[2:3]
	v_cvt_f32_f64_e32 v10, v[10:11]
	v_cvt_f32_f64_e32 v11, v[6:7]
	v_mad_u64_u32 v[6:7], s[6:7], s0, v192, v[14:15]
	v_accvgpr_read_b32 v18, a82
	v_add_u32_e32 v7, s4, v7
	v_accvgpr_read_b32 v19, a83
	global_store_dwordx2 v[6:7], v[10:11], off
	v_mul_f32_e32 v10, v19, v13
	v_fmac_f32_e32 v10, v18, v12
	v_cvt_f64_f32_e32 v[10:11], v10
	v_mul_f64 v[10:11], v[10:11], s[2:3]
	v_cvt_f32_f64_e32 v14, v[10:11]
	v_mul_f32_e32 v10, v19, v12
	v_fma_f32 v10, v18, v13, -v10
	v_cvt_f64_f32_e32 v[10:11], v10
	v_mul_f64 v[10:11], v[10:11], s[2:3]
	v_cvt_f32_f64_e32 v15, v[10:11]
	ds_read2_b64 v[10:13], v27 offset0:54 offset1:103
	v_mad_u64_u32 v[6:7], s[6:7], s0, v192, v[6:7]
	v_accvgpr_read_b32 v18, a78
	v_add_u32_e32 v7, s4, v7
	v_accvgpr_read_b32 v19, a79
	global_store_dwordx2 v[6:7], v[14:15], off
	s_waitcnt lgkmcnt(0)
	v_mul_f32_e32 v14, v19, v11
	v_fmac_f32_e32 v14, v18, v10
	v_mul_f32_e32 v10, v19, v10
	v_fma_f32 v10, v18, v11, -v10
	v_cvt_f64_f32_e32 v[14:15], v14
	v_cvt_f64_f32_e32 v[10:11], v10
	v_mul_f64 v[14:15], v[14:15], s[2:3]
	v_mul_f64 v[10:11], v[10:11], s[2:3]
	v_mad_u64_u32 v[6:7], s[6:7], s0, v192, v[6:7]
	v_cvt_f32_f64_e32 v14, v[14:15]
	v_cvt_f32_f64_e32 v15, v[10:11]
	v_add_u32_e32 v7, s4, v7
	global_store_dwordx2 v[6:7], v[14:15], off
	v_accvgpr_read_b32 v14, a76
	v_accvgpr_read_b32 v15, a77
	v_mul_f32_e32 v10, v15, v17
	v_fmac_f32_e32 v10, v14, v16
	v_cvt_f64_f32_e32 v[10:11], v10
	v_mul_f64 v[10:11], v[10:11], s[2:3]
	v_cvt_f32_f64_e32 v10, v[10:11]
	v_mul_f32_e32 v11, v15, v16
	v_fma_f32 v11, v14, v17, -v11
	v_cvt_f64_f32_e32 v[14:15], v11
	v_mul_f64 v[14:15], v[14:15], s[2:3]
	v_cvt_f32_f64_e32 v11, v[14:15]
	ds_read2_b64 v[14:17], v26 offset0:100 offset1:149
	v_mad_u64_u32 v[6:7], s[6:7], s0, v192, v[6:7]
	v_accvgpr_read_b32 v18, a74
	v_add_u32_e32 v7, s4, v7
	v_accvgpr_read_b32 v19, a75
	global_store_dwordx2 v[6:7], v[10:11], off
	s_waitcnt lgkmcnt(0)
	v_mul_f32_e32 v10, v19, v15
	v_fmac_f32_e32 v10, v18, v14
	v_cvt_f64_f32_e32 v[10:11], v10
	v_mul_f64 v[10:11], v[10:11], s[2:3]
	v_cvt_f32_f64_e32 v10, v[10:11]
	v_mul_f32_e32 v11, v19, v14
	v_fma_f32 v11, v18, v15, -v11
	v_cvt_f64_f32_e32 v[14:15], v11
	v_mul_f64 v[14:15], v[14:15], s[2:3]
	v_cvt_f32_f64_e32 v11, v[14:15]
	v_mad_u64_u32 v[6:7], s[6:7], s0, v192, v[6:7]
	v_accvgpr_read_b32 v14, a72
	v_add_u32_e32 v7, s4, v7
	v_accvgpr_read_b32 v15, a73
	global_store_dwordx2 v[6:7], v[10:11], off
	v_mul_f32_e32 v10, v15, v21
	v_fmac_f32_e32 v10, v14, v20
	v_cvt_f64_f32_e32 v[10:11], v10
	v_mul_f64 v[10:11], v[10:11], s[2:3]
	v_cvt_f32_f64_e32 v10, v[10:11]
	v_mul_f32_e32 v11, v15, v20
	v_fma_f32 v11, v14, v21, -v11
	ds_read2_b64 v[18:21], v193 offset0:98 offset1:147
	v_cvt_f64_f32_e32 v[14:15], v11
	v_mul_f64 v[14:15], v[14:15], s[2:3]
	v_cvt_f32_f64_e32 v11, v[14:15]
	v_mad_u64_u32 v[6:7], s[6:7], s0, v192, v[6:7]
	v_accvgpr_read_b32 v14, a70
	v_add_u32_e32 v7, s4, v7
	v_accvgpr_read_b32 v15, a71
	global_store_dwordx2 v[6:7], v[10:11], off
	s_waitcnt lgkmcnt(0)
	v_mul_f32_e32 v10, v15, v19
	v_fmac_f32_e32 v10, v14, v18
	v_cvt_f64_f32_e32 v[10:11], v10
	v_mul_f64 v[10:11], v[10:11], s[2:3]
	v_cvt_f32_f64_e32 v10, v[10:11]
	v_mul_f32_e32 v11, v15, v18
	v_fma_f32 v11, v14, v19, -v11
	v_cvt_f64_f32_e32 v[14:15], v11
	v_accvgpr_read_b32 v18, a68
	v_mul_f64 v[14:15], v[14:15], s[2:3]
	v_accvgpr_read_b32 v19, a69
	v_cvt_f32_f64_e32 v11, v[14:15]
	v_mad_u64_u32 v[14:15], s[6:7], s0, v22, v[6:7]
	v_mul_f32_e32 v6, v19, v9
	v_fmac_f32_e32 v6, v18, v8
	v_cvt_f64_f32_e32 v[6:7], v6
	v_add_u32_e32 v15, s1, v15
	v_mul_f64 v[6:7], v[6:7], s[2:3]
	global_store_dwordx2 v[14:15], v[10:11], off
	v_cvt_f32_f64_e32 v10, v[6:7]
	v_mul_f32_e32 v6, v19, v8
	v_fma_f32 v6, v18, v9, -v6
	v_cvt_f64_f32_e32 v[6:7], v6
	v_mul_f64 v[6:7], v[6:7], s[2:3]
	v_cvt_f32_f64_e32 v11, v[6:7]
	ds_read2_b64 v[6:9], v25 offset0:16 offset1:65
	v_mad_u64_u32 v[14:15], s[6:7], s0, v192, v[14:15]
	v_accvgpr_read_b32 v18, a66
	v_add_u32_e32 v15, s4, v15
	v_accvgpr_read_b32 v19, a67
	global_store_dwordx2 v[14:15], v[10:11], off
	s_waitcnt lgkmcnt(0)
	v_mul_f32_e32 v10, v19, v7
	v_fmac_f32_e32 v10, v18, v6
	v_mul_f32_e32 v6, v19, v6
	v_fma_f32 v6, v18, v7, -v6
	v_cvt_f64_f32_e32 v[10:11], v10
	v_cvt_f64_f32_e32 v[6:7], v6
	v_mul_f64 v[10:11], v[10:11], s[2:3]
	v_mul_f64 v[6:7], v[6:7], s[2:3]
	v_cvt_f32_f64_e32 v10, v[10:11]
	v_cvt_f32_f64_e32 v11, v[6:7]
	v_mad_u64_u32 v[6:7], s[6:7], s0, v192, v[14:15]
	v_accvgpr_read_b32 v18, a32
	v_add_u32_e32 v7, s4, v7
	v_accvgpr_read_b32 v19, a33
	global_store_dwordx2 v[6:7], v[10:11], off
	v_mul_f32_e32 v10, v19, v13
	v_fmac_f32_e32 v10, v18, v12
	v_cvt_f64_f32_e32 v[10:11], v10
	v_mul_f64 v[10:11], v[10:11], s[2:3]
	v_cvt_f32_f64_e32 v14, v[10:11]
	v_mul_f32_e32 v10, v19, v12
	v_fma_f32 v10, v18, v13, -v10
	v_cvt_f64_f32_e32 v[10:11], v10
	v_mul_f64 v[10:11], v[10:11], s[2:3]
	v_cvt_f32_f64_e32 v15, v[10:11]
	ds_read2_b64 v[10:13], v221 offset0:190 offset1:239
	v_mad_u64_u32 v[6:7], s[6:7], s0, v192, v[6:7]
	v_accvgpr_read_b32 v18, a64
	v_add_u32_e32 v7, s4, v7
	v_accvgpr_read_b32 v19, a65
	global_store_dwordx2 v[6:7], v[14:15], off
	s_waitcnt lgkmcnt(0)
	v_mul_f32_e32 v14, v19, v11
	v_fmac_f32_e32 v14, v18, v10
	v_mul_f32_e32 v10, v19, v10
	v_fma_f32 v10, v18, v11, -v10
	v_cvt_f64_f32_e32 v[14:15], v14
	v_cvt_f64_f32_e32 v[10:11], v10
	v_mul_f64 v[14:15], v[14:15], s[2:3]
	v_mul_f64 v[10:11], v[10:11], s[2:3]
	v_mad_u64_u32 v[6:7], s[6:7], s0, v192, v[6:7]
	v_cvt_f32_f64_e32 v14, v[14:15]
	v_cvt_f32_f64_e32 v15, v[10:11]
	v_add_u32_e32 v7, s4, v7
	global_store_dwordx2 v[6:7], v[14:15], off
	v_accvgpr_read_b32 v14, a62
	v_accvgpr_read_b32 v15, a63
	v_mul_f32_e32 v10, v15, v17
	v_fmac_f32_e32 v10, v14, v16
	v_cvt_f64_f32_e32 v[10:11], v10
	v_mul_f64 v[10:11], v[10:11], s[2:3]
	v_cvt_f32_f64_e32 v10, v[10:11]
	v_mul_f32_e32 v11, v15, v16
	v_fma_f32 v11, v14, v17, -v11
	v_cvt_f64_f32_e32 v[14:15], v11
	v_mul_f64 v[14:15], v[14:15], s[2:3]
	v_cvt_f32_f64_e32 v11, v[14:15]
	ds_read2_b64 v[14:17], v194 offset0:108 offset1:157
	v_mad_u64_u32 v[6:7], s[6:7], s0, v192, v[6:7]
	v_accvgpr_read_b32 v18, a60
	v_add_u32_e32 v7, s4, v7
	v_accvgpr_read_b32 v19, a61
	global_store_dwordx2 v[6:7], v[10:11], off
	s_waitcnt lgkmcnt(0)
	v_mul_f32_e32 v10, v19, v15
	v_fmac_f32_e32 v10, v18, v14
	v_cvt_f64_f32_e32 v[10:11], v10
	v_mul_f64 v[10:11], v[10:11], s[2:3]
	v_cvt_f32_f64_e32 v10, v[10:11]
	v_mul_f32_e32 v11, v19, v14
	v_fma_f32 v11, v18, v15, -v11
	v_cvt_f64_f32_e32 v[14:15], v11
	v_mul_f64 v[14:15], v[14:15], s[2:3]
	v_cvt_f32_f64_e32 v11, v[14:15]
	v_mad_u64_u32 v[6:7], s[6:7], s0, v192, v[6:7]
	v_accvgpr_read_b32 v14, a58
	v_add_u32_e32 v7, s4, v7
	v_accvgpr_read_b32 v15, a59
	global_store_dwordx2 v[6:7], v[10:11], off
	v_mul_f32_e32 v10, v15, v21
	v_fmac_f32_e32 v10, v14, v20
	v_cvt_f64_f32_e32 v[10:11], v10
	v_mul_f64 v[10:11], v[10:11], s[2:3]
	v_cvt_f32_f64_e32 v10, v[10:11]
	v_mul_f32_e32 v11, v15, v20
	v_fma_f32 v11, v14, v21, -v11
	ds_read2_b64 v[18:21], v183 offset0:106 offset1:155
	v_cvt_f64_f32_e32 v[14:15], v11
	v_mov_b32_e32 v22, 0xffffc138
	v_mul_f64 v[14:15], v[14:15], s[2:3]
	v_cvt_f32_f64_e32 v11, v[14:15]
	v_mad_u64_u32 v[6:7], s[6:7], s0, v22, v[6:7]
	v_accvgpr_read_b32 v14, a56
	v_add_u32_e32 v7, s1, v7
	v_accvgpr_read_b32 v15, a57
	global_store_dwordx2 v[6:7], v[10:11], off
	s_waitcnt lgkmcnt(0)
	v_mul_f32_e32 v10, v15, v19
	v_fmac_f32_e32 v10, v14, v18
	v_cvt_f64_f32_e32 v[10:11], v10
	v_mul_f64 v[10:11], v[10:11], s[2:3]
	v_cvt_f32_f64_e32 v10, v[10:11]
	v_mul_f32_e32 v11, v15, v18
	v_fma_f32 v11, v14, v19, -v11
	v_cvt_f64_f32_e32 v[14:15], v11
	v_accvgpr_read_b32 v18, a54
	v_mul_f64 v[14:15], v[14:15], s[2:3]
	v_accvgpr_read_b32 v19, a55
	v_cvt_f32_f64_e32 v11, v[14:15]
	v_mad_u64_u32 v[14:15], s[6:7], s0, v192, v[6:7]
	v_mul_f32_e32 v6, v19, v9
	v_fmac_f32_e32 v6, v18, v8
	v_cvt_f64_f32_e32 v[6:7], v6
	v_add_u32_e32 v15, s4, v15
	v_mul_f64 v[6:7], v[6:7], s[2:3]
	global_store_dwordx2 v[14:15], v[10:11], off
	v_cvt_f32_f64_e32 v10, v[6:7]
	v_mul_f32_e32 v6, v19, v8
	v_fma_f32 v6, v18, v9, -v6
	v_cvt_f64_f32_e32 v[6:7], v6
	v_mul_f64 v[6:7], v[6:7], s[2:3]
	v_cvt_f32_f64_e32 v11, v[6:7]
	ds_read2_b64 v[6:9], v27 offset0:152 offset1:201
	v_mad_u64_u32 v[14:15], s[6:7], s0, v192, v[14:15]
	v_accvgpr_read_b32 v18, a52
	v_add_u32_e32 v15, s4, v15
	v_accvgpr_read_b32 v19, a53
	global_store_dwordx2 v[14:15], v[10:11], off
	s_waitcnt lgkmcnt(0)
	v_mul_f32_e32 v10, v19, v7
	v_fmac_f32_e32 v10, v18, v6
	v_mul_f32_e32 v6, v19, v6
	v_fma_f32 v6, v18, v7, -v6
	v_cvt_f64_f32_e32 v[10:11], v10
	v_cvt_f64_f32_e32 v[6:7], v6
	v_mul_f64 v[10:11], v[10:11], s[2:3]
	v_mul_f64 v[6:7], v[6:7], s[2:3]
	v_cvt_f32_f64_e32 v10, v[10:11]
	v_cvt_f32_f64_e32 v11, v[6:7]
	v_mad_u64_u32 v[6:7], s[6:7], s0, v192, v[14:15]
	v_accvgpr_read_b32 v18, a50
	v_add_u32_e32 v7, s4, v7
	v_accvgpr_read_b32 v19, a51
	global_store_dwordx2 v[6:7], v[10:11], off
	v_mul_f32_e32 v10, v19, v13
	v_fmac_f32_e32 v10, v18, v12
	v_cvt_f64_f32_e32 v[10:11], v10
	v_mul_f64 v[10:11], v[10:11], s[2:3]
	v_cvt_f32_f64_e32 v14, v[10:11]
	v_mul_f32_e32 v10, v19, v12
	v_fma_f32 v10, v18, v13, -v10
	v_cvt_f64_f32_e32 v[10:11], v10
	v_mul_f64 v[10:11], v[10:11], s[2:3]
	v_cvt_f32_f64_e32 v15, v[10:11]
	ds_read2_b64 v[10:13], v184 offset0:70 offset1:119
	v_mad_u64_u32 v[6:7], s[6:7], s0, v192, v[6:7]
	v_accvgpr_read_b32 v18, a48
	v_add_u32_e32 v7, s4, v7
	v_accvgpr_read_b32 v19, a49
	global_store_dwordx2 v[6:7], v[14:15], off
	s_waitcnt lgkmcnt(0)
	v_mul_f32_e32 v14, v19, v11
	v_fmac_f32_e32 v14, v18, v10
	v_mul_f32_e32 v10, v19, v10
	v_fma_f32 v10, v18, v11, -v10
	v_cvt_f64_f32_e32 v[14:15], v14
	v_cvt_f64_f32_e32 v[10:11], v10
	v_mul_f64 v[14:15], v[14:15], s[2:3]
	v_mul_f64 v[10:11], v[10:11], s[2:3]
	v_mad_u64_u32 v[6:7], s[6:7], s0, v192, v[6:7]
	v_cvt_f32_f64_e32 v14, v[14:15]
	v_cvt_f32_f64_e32 v15, v[10:11]
	v_add_u32_e32 v7, s4, v7
	global_store_dwordx2 v[6:7], v[14:15], off
	v_accvgpr_read_b32 v14, a46
	v_accvgpr_read_b32 v15, a47
	v_mul_f32_e32 v10, v15, v17
	v_fmac_f32_e32 v10, v14, v16
	v_cvt_f64_f32_e32 v[10:11], v10
	v_mul_f64 v[10:11], v[10:11], s[2:3]
	v_cvt_f32_f64_e32 v10, v[10:11]
	v_mul_f32_e32 v11, v15, v16
	v_fma_f32 v11, v14, v17, -v11
	v_cvt_f64_f32_e32 v[14:15], v11
	v_mul_f64 v[14:15], v[14:15], s[2:3]
	v_cvt_f32_f64_e32 v11, v[14:15]
	ds_read2_b64 v[14:17], v193 offset0:196 offset1:245
	v_mad_u64_u32 v[6:7], s[6:7], s0, v192, v[6:7]
	v_accvgpr_read_b32 v18, a44
	v_add_u32_e32 v7, s4, v7
	v_accvgpr_read_b32 v19, a45
	global_store_dwordx2 v[6:7], v[10:11], off
	s_waitcnt lgkmcnt(0)
	v_mul_f32_e32 v10, v19, v15
	v_fmac_f32_e32 v10, v18, v14
	v_cvt_f64_f32_e32 v[10:11], v10
	v_mul_f64 v[10:11], v[10:11], s[2:3]
	v_cvt_f32_f64_e32 v10, v[10:11]
	v_mul_f32_e32 v11, v19, v14
	v_fma_f32 v11, v18, v15, -v11
	v_cvt_f64_f32_e32 v[14:15], v11
	v_mul_f64 v[14:15], v[14:15], s[2:3]
	v_cvt_f32_f64_e32 v11, v[14:15]
	v_mad_u64_u32 v[6:7], s[6:7], s0, v22, v[6:7]
	v_accvgpr_read_b32 v14, a40
	v_add_u32_e32 v7, s1, v7
	v_accvgpr_read_b32 v15, a41
	global_store_dwordx2 v[6:7], v[10:11], off
	v_mul_f32_e32 v10, v15, v21
	v_fmac_f32_e32 v10, v14, v20
	v_cvt_f64_f32_e32 v[10:11], v10
	v_mul_f64 v[10:11], v[10:11], s[2:3]
	v_cvt_f32_f64_e32 v10, v[10:11]
	v_mul_f32_e32 v11, v15, v20
	v_fma_f32 v11, v14, v21, -v11
	ds_read2_b64 v[18:21], v25 offset0:114 offset1:163
	v_cvt_f64_f32_e32 v[14:15], v11
	v_mul_f64 v[14:15], v[14:15], s[2:3]
	v_cvt_f32_f64_e32 v11, v[14:15]
	v_mad_u64_u32 v[6:7], s[6:7], s0, v192, v[6:7]
	v_accvgpr_read_b32 v14, a34
	v_add_u32_e32 v7, s4, v7
	v_accvgpr_read_b32 v15, a35
	global_store_dwordx2 v[6:7], v[10:11], off
	s_waitcnt lgkmcnt(0)
	v_mul_f32_e32 v10, v15, v19
	v_fmac_f32_e32 v10, v14, v18
	v_cvt_f64_f32_e32 v[10:11], v10
	v_mul_f64 v[10:11], v[10:11], s[2:3]
	v_cvt_f32_f64_e32 v10, v[10:11]
	v_mul_f32_e32 v11, v15, v18
	v_fma_f32 v11, v14, v19, -v11
	v_cvt_f64_f32_e32 v[14:15], v11
	v_accvgpr_read_b32 v18, a42
	v_mul_f64 v[14:15], v[14:15], s[2:3]
	v_accvgpr_read_b32 v19, a43
	v_cvt_f32_f64_e32 v11, v[14:15]
	v_mad_u64_u32 v[14:15], s[6:7], s0, v192, v[6:7]
	v_mul_f32_e32 v6, v19, v9
	v_fmac_f32_e32 v6, v18, v8
	v_cvt_f64_f32_e32 v[6:7], v6
	v_add_u32_e32 v15, s4, v15
	v_mul_f64 v[6:7], v[6:7], s[2:3]
	global_store_dwordx2 v[14:15], v[10:11], off
	v_cvt_f32_f64_e32 v10, v[6:7]
	v_mul_f32_e32 v6, v19, v8
	v_fma_f32 v6, v18, v9, -v6
	v_cvt_f64_f32_e32 v[6:7], v6
	v_mul_f64 v[6:7], v[6:7], s[2:3]
	v_cvt_f32_f64_e32 v11, v[6:7]
	ds_read2_b64 v[6:9], v23 offset0:32 offset1:81
	v_mad_u64_u32 v[14:15], s[6:7], s0, v192, v[14:15]
	v_accvgpr_read_b32 v18, a36
	v_add_u32_e32 v15, s4, v15
	v_accvgpr_read_b32 v19, a37
	global_store_dwordx2 v[14:15], v[10:11], off
	s_waitcnt lgkmcnt(0)
	v_mul_f32_e32 v10, v19, v7
	v_fmac_f32_e32 v10, v18, v6
	v_mul_f32_e32 v6, v19, v6
	v_fma_f32 v6, v18, v7, -v6
	v_cvt_f64_f32_e32 v[10:11], v10
	v_cvt_f64_f32_e32 v[6:7], v6
	v_mul_f64 v[10:11], v[10:11], s[2:3]
	v_mul_f64 v[6:7], v[6:7], s[2:3]
	v_cvt_f32_f64_e32 v10, v[10:11]
	v_cvt_f32_f64_e32 v11, v[6:7]
	v_mad_u64_u32 v[6:7], s[6:7], s0, v192, v[14:15]
	v_accvgpr_read_b32 v18, a38
	v_add_u32_e32 v7, s4, v7
	v_accvgpr_read_b32 v19, a39
	global_store_dwordx2 v[6:7], v[10:11], off
	v_mul_f32_e32 v10, v19, v13
	v_fmac_f32_e32 v10, v18, v12
	v_cvt_f64_f32_e32 v[10:11], v10
	v_mul_f64 v[10:11], v[10:11], s[2:3]
	v_cvt_f32_f64_e32 v14, v[10:11]
	v_mul_f32_e32 v10, v19, v12
	v_fma_f32 v10, v18, v13, -v10
	v_cvt_f64_f32_e32 v[10:11], v10
	v_mul_f64 v[10:11], v[10:11], s[2:3]
	v_cvt_f32_f64_e32 v15, v[10:11]
	ds_read2_b64 v[10:13], v194 offset0:206 offset1:255
	v_mad_u64_u32 v[6:7], s[6:7], s0, v192, v[6:7]
	v_accvgpr_read_b32 v18, a30
	v_add_u32_e32 v7, s4, v7
	v_accvgpr_read_b32 v19, a31
	global_store_dwordx2 v[6:7], v[14:15], off
	s_waitcnt lgkmcnt(0)
	v_mul_f32_e32 v14, v19, v11
	v_fmac_f32_e32 v14, v18, v10
	v_mul_f32_e32 v10, v19, v10
	v_fma_f32 v10, v18, v11, -v10
	v_cvt_f64_f32_e32 v[14:15], v14
	v_cvt_f64_f32_e32 v[10:11], v10
	v_mul_f64 v[14:15], v[14:15], s[2:3]
	v_mul_f64 v[10:11], v[10:11], s[2:3]
	v_mad_u64_u32 v[6:7], s[6:7], s0, v192, v[6:7]
	v_cvt_f32_f64_e32 v14, v[14:15]
	v_cvt_f32_f64_e32 v15, v[10:11]
	v_add_u32_e32 v7, s4, v7
	global_store_dwordx2 v[6:7], v[14:15], off
	v_accvgpr_read_b32 v14, a28
	v_accvgpr_read_b32 v15, a29
	v_mul_f32_e32 v10, v15, v17
	v_fmac_f32_e32 v10, v14, v16
	v_cvt_f64_f32_e32 v[10:11], v10
	v_mul_f64 v[10:11], v[10:11], s[2:3]
	v_cvt_f32_f64_e32 v10, v[10:11]
	v_mul_f32_e32 v11, v15, v16
	v_fma_f32 v11, v14, v17, -v11
	v_cvt_f64_f32_e32 v[14:15], v11
	v_mul_f64 v[14:15], v[14:15], s[2:3]
	v_cvt_f32_f64_e32 v11, v[14:15]
	ds_read2_b64 v[14:17], v185 offset0:76 offset1:125
	v_mad_u64_u32 v[6:7], s[6:7], s0, v22, v[6:7]
	v_accvgpr_read_b32 v18, a26
	v_add_u32_e32 v7, s1, v7
	v_accvgpr_read_b32 v19, a27
	global_store_dwordx2 v[6:7], v[10:11], off
	s_waitcnt lgkmcnt(0)
	v_mul_f32_e32 v10, v19, v15
	v_fmac_f32_e32 v10, v18, v14
	v_cvt_f64_f32_e32 v[10:11], v10
	v_mul_f64 v[10:11], v[10:11], s[2:3]
	v_cvt_f32_f64_e32 v10, v[10:11]
	v_mul_f32_e32 v11, v19, v14
	v_fma_f32 v11, v18, v15, -v11
	v_cvt_f64_f32_e32 v[14:15], v11
	v_mul_f64 v[14:15], v[14:15], s[2:3]
	v_cvt_f32_f64_e32 v11, v[14:15]
	v_mad_u64_u32 v[6:7], s[6:7], s0, v192, v[6:7]
	v_accvgpr_read_b32 v14, a24
	v_add_u32_e32 v7, s4, v7
	v_accvgpr_read_b32 v15, a25
	global_store_dwordx2 v[6:7], v[10:11], off
	v_mul_f32_e32 v10, v15, v21
	v_fmac_f32_e32 v10, v14, v20
	v_cvt_f64_f32_e32 v[10:11], v10
	v_mul_f64 v[10:11], v[10:11], s[2:3]
	v_cvt_f32_f64_e32 v10, v[10:11]
	v_mul_f32_e32 v11, v15, v20
	v_fma_f32 v11, v14, v21, -v11
	ds_read2_b64 v[18:21], v24 offset0:122 offset1:171
	v_cvt_f64_f32_e32 v[14:15], v11
	v_mul_f64 v[14:15], v[14:15], s[2:3]
	v_cvt_f32_f64_e32 v11, v[14:15]
	v_mad_u64_u32 v[6:7], s[6:7], s0, v192, v[6:7]
	v_accvgpr_read_b32 v14, a22
	v_add_u32_e32 v7, s4, v7
	v_accvgpr_read_b32 v15, a23
	global_store_dwordx2 v[6:7], v[10:11], off
	s_waitcnt lgkmcnt(0)
	v_mul_f32_e32 v10, v15, v19
	v_fmac_f32_e32 v10, v14, v18
	v_cvt_f64_f32_e32 v[10:11], v10
	v_mul_f64 v[10:11], v[10:11], s[2:3]
	v_cvt_f32_f64_e32 v10, v[10:11]
	v_mul_f32_e32 v11, v15, v18
	v_fma_f32 v11, v14, v19, -v11
	v_cvt_f64_f32_e32 v[14:15], v11
	v_accvgpr_read_b32 v18, a20
	v_mul_f64 v[14:15], v[14:15], s[2:3]
	v_accvgpr_read_b32 v19, a21
	v_cvt_f32_f64_e32 v11, v[14:15]
	v_mad_u64_u32 v[14:15], s[6:7], s0, v192, v[6:7]
	v_mul_f32_e32 v6, v19, v9
	v_fmac_f32_e32 v6, v18, v8
	v_cvt_f64_f32_e32 v[6:7], v6
	v_add_u32_e32 v15, s4, v15
	v_mul_f64 v[6:7], v[6:7], s[2:3]
	global_store_dwordx2 v[14:15], v[10:11], off
	v_cvt_f32_f64_e32 v10, v[6:7]
	v_mul_f32_e32 v6, v19, v8
	v_fma_f32 v6, v18, v9, -v6
	v_cvt_f64_f32_e32 v[6:7], v6
	v_mul_f64 v[6:7], v[6:7], s[2:3]
	v_cvt_f32_f64_e32 v11, v[6:7]
	ds_read2_b64 v[6:9], v184 offset0:168 offset1:217
	v_mad_u64_u32 v[14:15], s[6:7], s0, v192, v[14:15]
	v_accvgpr_read_b32 v18, a18
	v_add_u32_e32 v15, s4, v15
	v_accvgpr_read_b32 v19, a19
	global_store_dwordx2 v[14:15], v[10:11], off
	s_waitcnt lgkmcnt(0)
	v_mul_f32_e32 v10, v19, v7
	v_fmac_f32_e32 v10, v18, v6
	v_mul_f32_e32 v6, v19, v6
	v_fma_f32 v6, v18, v7, -v6
	v_cvt_f64_f32_e32 v[10:11], v10
	v_cvt_f64_f32_e32 v[6:7], v6
	v_mul_f64 v[10:11], v[10:11], s[2:3]
	v_mul_f64 v[6:7], v[6:7], s[2:3]
	v_cvt_f32_f64_e32 v10, v[10:11]
	v_cvt_f32_f64_e32 v11, v[6:7]
	v_mad_u64_u32 v[6:7], s[6:7], s0, v192, v[14:15]
	v_accvgpr_read_b32 v14, a16
	v_add_u32_e32 v7, s4, v7
	v_accvgpr_read_b32 v15, a17
	global_store_dwordx2 v[6:7], v[10:11], off
	v_mul_f32_e32 v10, v15, v13
	v_fmac_f32_e32 v10, v14, v12
	v_cvt_f64_f32_e32 v[10:11], v10
	v_mul_f64 v[10:11], v[10:11], s[2:3]
	v_cvt_f32_f64_e32 v10, v[10:11]
	v_mul_f32_e32 v11, v15, v12
	v_fma_f32 v11, v14, v13, -v11
	v_cvt_f64_f32_e32 v[12:13], v11
	v_mul_f64 v[12:13], v[12:13], s[2:3]
	v_cvt_f32_f64_e32 v11, v[12:13]
	v_mad_u64_u32 v[6:7], s[6:7], s0, v192, v[6:7]
	v_accvgpr_read_b32 v12, a14
	v_add_u32_e32 v7, s4, v7
	v_accvgpr_read_b32 v13, a15
	global_store_dwordx2 v[6:7], v[10:11], off
	v_mul_f32_e32 v10, v13, v1
	v_fmac_f32_e32 v10, v12, v0
	v_mul_f32_e32 v0, v13, v0
	v_fma_f32 v0, v12, v1, -v0
	v_cvt_f64_f32_e32 v[10:11], v10
	v_cvt_f64_f32_e32 v[0:1], v0
	v_mul_f64 v[10:11], v[10:11], s[2:3]
	v_mul_f64 v[0:1], v[0:1], s[2:3]
	v_cvt_f32_f64_e32 v10, v[10:11]
	v_cvt_f32_f64_e32 v11, v[0:1]
	v_mad_u64_u32 v[0:1], s[6:7], s0, v22, v[6:7]
	v_add_u32_e32 v1, s1, v1
	global_store_dwordx2 v[0:1], v[10:11], off
	v_accvgpr_read_b32 v10, a12
	v_accvgpr_read_b32 v11, a13
	v_mul_f32_e32 v6, v11, v17
	v_fmac_f32_e32 v6, v10, v16
	v_cvt_f64_f32_e32 v[6:7], v6
	v_mul_f64 v[6:7], v[6:7], s[2:3]
	v_cvt_f32_f64_e32 v6, v[6:7]
	v_mul_f32_e32 v7, v11, v16
	v_fma_f32 v7, v10, v17, -v7
	v_cvt_f64_f32_e32 v[10:11], v7
	v_mul_f64 v[10:11], v[10:11], s[2:3]
	v_cvt_f32_f64_e32 v7, v[10:11]
	v_mad_u64_u32 v[0:1], s[6:7], s0, v192, v[0:1]
	v_accvgpr_read_b32 v10, a10
	v_add_u32_e32 v1, s4, v1
	v_accvgpr_read_b32 v11, a11
	global_store_dwordx2 v[0:1], v[6:7], off
	v_mul_f32_e32 v6, v11, v3
	v_fmac_f32_e32 v6, v10, v2
	v_mul_f32_e32 v2, v11, v2
	v_fma_f32 v2, v10, v3, -v2
	v_cvt_f64_f32_e32 v[6:7], v6
	v_cvt_f64_f32_e32 v[2:3], v2
	v_mul_f64 v[6:7], v[6:7], s[2:3]
	v_mul_f64 v[2:3], v[2:3], s[2:3]
	v_mad_u64_u32 v[0:1], s[6:7], s0, v192, v[0:1]
	v_cvt_f32_f64_e32 v6, v[6:7]
	v_cvt_f32_f64_e32 v7, v[2:3]
	v_add_u32_e32 v1, s4, v1
	global_store_dwordx2 v[0:1], v[6:7], off
	v_accvgpr_read_b32 v6, a8
	v_accvgpr_read_b32 v7, a9
	v_mul_f32_e32 v2, v7, v21
	v_fmac_f32_e32 v2, v6, v20
	v_cvt_f64_f32_e32 v[2:3], v2
	v_mul_f64 v[2:3], v[2:3], s[2:3]
	v_cvt_f32_f64_e32 v2, v[2:3]
	v_mul_f32_e32 v3, v7, v20
	v_fma_f32 v3, v6, v21, -v3
	v_cvt_f64_f32_e32 v[6:7], v3
	v_mul_f64 v[6:7], v[6:7], s[2:3]
	v_cvt_f32_f64_e32 v3, v[6:7]
	v_mad_u64_u32 v[0:1], s[6:7], s0, v192, v[0:1]
	v_accvgpr_read_b32 v6, a6
	v_add_u32_e32 v1, s4, v1
	v_accvgpr_read_b32 v7, a7
	global_store_dwordx2 v[0:1], v[2:3], off
	v_mul_f32_e32 v2, v7, v5
	v_fmac_f32_e32 v2, v6, v4
	v_cvt_f64_f32_e32 v[2:3], v2
	v_mul_f64 v[2:3], v[2:3], s[2:3]
	v_cvt_f32_f64_e32 v2, v[2:3]
	v_mul_f32_e32 v3, v7, v4
	v_fma_f32 v3, v6, v5, -v3
	v_cvt_f64_f32_e32 v[4:5], v3
	v_mul_f64 v[4:5], v[4:5], s[2:3]
	v_cvt_f32_f64_e32 v3, v[4:5]
	v_mad_u64_u32 v[0:1], s[6:7], s0, v192, v[0:1]
	v_accvgpr_read_b32 v4, a184
	v_add_u32_e32 v1, s4, v1
	v_accvgpr_read_b32 v5, a185
	global_store_dwordx2 v[0:1], v[2:3], off
	v_mul_f32_e32 v2, v5, v9
	v_fmac_f32_e32 v2, v4, v8
	v_cvt_f64_f32_e32 v[2:3], v2
	v_mul_f64 v[2:3], v[2:3], s[2:3]
	v_cvt_f32_f64_e32 v2, v[2:3]
	v_mul_f32_e32 v3, v5, v8
	v_fma_f32 v3, v4, v9, -v3
	v_cvt_f64_f32_e32 v[4:5], v3
	v_mul_f64 v[4:5], v[4:5], s[2:3]
	v_cvt_f32_f64_e32 v3, v[4:5]
	ds_read_b64 v[4:5], v193 offset:18816
	v_mad_u64_u32 v[0:1], s[6:7], s0, v192, v[0:1]
	v_accvgpr_read_b32 v6, a102
	v_add_u32_e32 v1, s4, v1
	v_accvgpr_read_b32 v7, a103
	global_store_dwordx2 v[0:1], v[2:3], off
	s_waitcnt lgkmcnt(0)
	v_mul_f32_e32 v2, v7, v5
	v_fmac_f32_e32 v2, v6, v4
	v_cvt_f64_f32_e32 v[2:3], v2
	v_mul_f64 v[2:3], v[2:3], s[2:3]
	v_cvt_f32_f64_e32 v2, v[2:3]
	v_mul_f32_e32 v3, v7, v4
	v_fma_f32 v3, v6, v5, -v3
	v_cvt_f64_f32_e32 v[4:5], v3
	v_mul_f64 v[4:5], v[4:5], s[2:3]
	v_mad_u64_u32 v[0:1], s[0:1], s0, v192, v[0:1]
	v_cvt_f32_f64_e32 v3, v[4:5]
	v_add_u32_e32 v1, s4, v1
	global_store_dwordx2 v[0:1], v[2:3], off
.LBB0_2:
	s_endpgm
	.section	.rodata,"a",@progbits
	.p2align	6, 0x0
	.amdhsa_kernel bluestein_single_fwd_len2401_dim1_sp_op_CI_CI
		.amdhsa_group_segment_fixed_size 19208
		.amdhsa_private_segment_fixed_size 12
		.amdhsa_kernarg_size 104
		.amdhsa_user_sgpr_count 6
		.amdhsa_user_sgpr_private_segment_buffer 1
		.amdhsa_user_sgpr_dispatch_ptr 0
		.amdhsa_user_sgpr_queue_ptr 0
		.amdhsa_user_sgpr_kernarg_segment_ptr 1
		.amdhsa_user_sgpr_dispatch_id 0
		.amdhsa_user_sgpr_flat_scratch_init 0
		.amdhsa_user_sgpr_kernarg_preload_length 0
		.amdhsa_user_sgpr_kernarg_preload_offset 0
		.amdhsa_user_sgpr_private_segment_size 0
		.amdhsa_uses_dynamic_stack 0
		.amdhsa_system_sgpr_private_segment_wavefront_offset 1
		.amdhsa_system_sgpr_workgroup_id_x 1
		.amdhsa_system_sgpr_workgroup_id_y 0
		.amdhsa_system_sgpr_workgroup_id_z 0
		.amdhsa_system_sgpr_workgroup_info 0
		.amdhsa_system_vgpr_workitem_id 0
		.amdhsa_next_free_vgpr 512
		.amdhsa_next_free_sgpr 28
		.amdhsa_accum_offset 256
		.amdhsa_reserve_vcc 1
		.amdhsa_reserve_flat_scratch 0
		.amdhsa_float_round_mode_32 0
		.amdhsa_float_round_mode_16_64 0
		.amdhsa_float_denorm_mode_32 3
		.amdhsa_float_denorm_mode_16_64 3
		.amdhsa_dx10_clamp 1
		.amdhsa_ieee_mode 1
		.amdhsa_fp16_overflow 0
		.amdhsa_tg_split 0
		.amdhsa_exception_fp_ieee_invalid_op 0
		.amdhsa_exception_fp_denorm_src 0
		.amdhsa_exception_fp_ieee_div_zero 0
		.amdhsa_exception_fp_ieee_overflow 0
		.amdhsa_exception_fp_ieee_underflow 0
		.amdhsa_exception_fp_ieee_inexact 0
		.amdhsa_exception_int_div_zero 0
	.end_amdhsa_kernel
	.text
.Lfunc_end0:
	.size	bluestein_single_fwd_len2401_dim1_sp_op_CI_CI, .Lfunc_end0-bluestein_single_fwd_len2401_dim1_sp_op_CI_CI
                                        ; -- End function
	.section	.AMDGPU.csdata,"",@progbits
; Kernel info:
; codeLenInByte = 53852
; NumSgprs: 32
; NumVgprs: 256
; NumAgprs: 256
; TotalNumVgprs: 512
; ScratchSize: 12
; MemoryBound: 0
; FloatMode: 240
; IeeeMode: 1
; LDSByteSize: 19208 bytes/workgroup (compile time only)
; SGPRBlocks: 3
; VGPRBlocks: 63
; NumSGPRsForWavesPerEU: 32
; NumVGPRsForWavesPerEU: 512
; AccumOffset: 256
; Occupancy: 1
; WaveLimiterHint : 1
; COMPUTE_PGM_RSRC2:SCRATCH_EN: 1
; COMPUTE_PGM_RSRC2:USER_SGPR: 6
; COMPUTE_PGM_RSRC2:TRAP_HANDLER: 0
; COMPUTE_PGM_RSRC2:TGID_X_EN: 1
; COMPUTE_PGM_RSRC2:TGID_Y_EN: 0
; COMPUTE_PGM_RSRC2:TGID_Z_EN: 0
; COMPUTE_PGM_RSRC2:TIDIG_COMP_CNT: 0
; COMPUTE_PGM_RSRC3_GFX90A:ACCUM_OFFSET: 63
; COMPUTE_PGM_RSRC3_GFX90A:TG_SPLIT: 0
	.text
	.p2alignl 6, 3212836864
	.fill 256, 4, 3212836864
	.type	__hip_cuid_3169f8c2d7fa9fef,@object ; @__hip_cuid_3169f8c2d7fa9fef
	.section	.bss,"aw",@nobits
	.globl	__hip_cuid_3169f8c2d7fa9fef
__hip_cuid_3169f8c2d7fa9fef:
	.byte	0                               ; 0x0
	.size	__hip_cuid_3169f8c2d7fa9fef, 1

	.ident	"AMD clang version 19.0.0git (https://github.com/RadeonOpenCompute/llvm-project roc-6.4.0 25133 c7fe45cf4b819c5991fe208aaa96edf142730f1d)"
	.section	".note.GNU-stack","",@progbits
	.addrsig
	.addrsig_sym __hip_cuid_3169f8c2d7fa9fef
	.amdgpu_metadata
---
amdhsa.kernels:
  - .agpr_count:     256
    .args:
      - .actual_access:  read_only
        .address_space:  global
        .offset:         0
        .size:           8
        .value_kind:     global_buffer
      - .actual_access:  read_only
        .address_space:  global
        .offset:         8
        .size:           8
        .value_kind:     global_buffer
      - .actual_access:  read_only
        .address_space:  global
        .offset:         16
        .size:           8
        .value_kind:     global_buffer
      - .actual_access:  read_only
        .address_space:  global
        .offset:         24
        .size:           8
        .value_kind:     global_buffer
      - .actual_access:  read_only
        .address_space:  global
        .offset:         32
        .size:           8
        .value_kind:     global_buffer
      - .offset:         40
        .size:           8
        .value_kind:     by_value
      - .address_space:  global
        .offset:         48
        .size:           8
        .value_kind:     global_buffer
      - .address_space:  global
        .offset:         56
        .size:           8
        .value_kind:     global_buffer
      - .address_space:  global
        .offset:         64
        .size:           8
        .value_kind:     global_buffer
      - .address_space:  global
        .offset:         72
        .size:           8
        .value_kind:     global_buffer
      - .offset:         80
        .size:           4
        .value_kind:     by_value
      - .address_space:  global
        .offset:         88
        .size:           8
        .value_kind:     global_buffer
      - .address_space:  global
        .offset:         96
        .size:           8
        .value_kind:     global_buffer
    .group_segment_fixed_size: 19208
    .kernarg_segment_align: 8
    .kernarg_segment_size: 104
    .language:       OpenCL C
    .language_version:
      - 2
      - 0
    .max_flat_workgroup_size: 49
    .name:           bluestein_single_fwd_len2401_dim1_sp_op_CI_CI
    .private_segment_fixed_size: 12
    .sgpr_count:     32
    .sgpr_spill_count: 0
    .symbol:         bluestein_single_fwd_len2401_dim1_sp_op_CI_CI.kd
    .uniform_work_group_size: 1
    .uses_dynamic_stack: false
    .vgpr_count:     512
    .vgpr_spill_count: 2
    .wavefront_size: 64
amdhsa.target:   amdgcn-amd-amdhsa--gfx90a
amdhsa.version:
  - 1
  - 2
...

	.end_amdgpu_metadata
